;; amdgpu-corpus repo=ROCm/rocFFT kind=compiled arch=gfx906 opt=O3
	.text
	.amdgcn_target "amdgcn-amd-amdhsa--gfx906"
	.amdhsa_code_object_version 6
	.protected	bluestein_single_fwd_len1309_dim1_dp_op_CI_CI ; -- Begin function bluestein_single_fwd_len1309_dim1_dp_op_CI_CI
	.globl	bluestein_single_fwd_len1309_dim1_dp_op_CI_CI
	.p2align	8
	.type	bluestein_single_fwd_len1309_dim1_dp_op_CI_CI,@function
bluestein_single_fwd_len1309_dim1_dp_op_CI_CI: ; @bluestein_single_fwd_len1309_dim1_dp_op_CI_CI
; %bb.0:
	s_mov_b64 s[66:67], s[2:3]
	s_mov_b64 s[64:65], s[0:1]
	v_mul_u32_u24_e32 v1, 0x227, v0
	s_add_u32 s64, s64, s7
	v_add_u32_sdwa v3, s6, v1 dst_sel:DWORD dst_unused:UNUSED_PAD src0_sel:DWORD src1_sel:WORD_1
	s_addc_u32 s65, s65, 0
	v_mov_b32_e32 v2, v3
	buffer_store_dword v2, off, s[64:67], 0 ; 4-byte Folded Spill
	s_nop 0
	buffer_store_dword v3, off, s[64:67], 0 offset:4 ; 4-byte Folded Spill
	s_load_dwordx4 s[0:3], s[4:5], 0x28
	v_mov_b32_e32 v4, 0
	s_waitcnt lgkmcnt(0)
	v_cmp_gt_u64_e32 vcc, s[0:1], v[3:4]
	s_and_saveexec_b64 s[0:1], vcc
	s_cbranch_execz .LBB0_23
; %bb.1:
	s_load_dwordx2 s[12:13], s[4:5], 0x0
	s_load_dwordx2 s[14:15], s[4:5], 0x38
	s_movk_i32 s0, 0x77
	v_mul_lo_u16_sdwa v1, v1, s0 dst_sel:DWORD dst_unused:UNUSED_PAD src0_sel:WORD_1 src1_sel:DWORD
	v_sub_u16_e32 v148, v0, v1
	s_movk_i32 s0, 0x4d
	v_cmp_gt_u16_e64 s[0:1], s0, v148
	v_lshlrev_b32_e32 v255, 4, v148
	s_and_saveexec_b64 s[6:7], s[0:1]
	s_cbranch_execz .LBB0_3
; %bb.2:
	s_load_dwordx2 s[8:9], s[4:5], 0x18
	s_waitcnt lgkmcnt(0)
	s_load_dwordx4 s[8:11], s[8:9], 0x0
	buffer_load_dword v0, off, s[64:67], 0  ; 4-byte Folded Reload
	buffer_load_dword v1, off, s[64:67], 0 offset:4 ; 4-byte Folded Reload
	s_waitcnt lgkmcnt(0)
	v_mad_u64_u32 v[2:3], s[16:17], s8, v148, 0
	s_waitcnt vmcnt(1)
	v_mov_b32_e32 v4, v0
	s_waitcnt vmcnt(0)
	v_mad_u64_u32 v[0:1], s[16:17], s10, v4, 0
	v_mad_u64_u32 v[4:5], s[10:11], s11, v4, v[1:2]
	;; [unrolled: 1-line block ×3, first 2 shown]
	v_mov_b32_e32 v1, v4
	v_lshlrev_b64 v[0:1], 4, v[0:1]
	v_mov_b32_e32 v3, v5
	v_mov_b32_e32 v6, s3
	v_lshlrev_b64 v[2:3], 4, v[2:3]
	v_add_co_u32_e32 v0, vcc, s2, v0
	v_addc_co_u32_e32 v1, vcc, v6, v1, vcc
	v_add_co_u32_e32 v16, vcc, v0, v2
	v_addc_co_u32_e32 v17, vcc, v1, v3, vcc
	v_mov_b32_e32 v0, s13
	v_add_co_u32_e32 v118, vcc, s12, v255
	s_mul_i32 s2, s9, 0x4d0
	s_mul_hi_u32 s3, s8, 0x4d0
	v_addc_co_u32_e32 v119, vcc, 0, v0, vcc
	s_add_i32 s2, s3, s2
	s_mul_i32 s3, s8, 0x4d0
	v_mov_b32_e32 v0, s2
	v_add_co_u32_e32 v18, vcc, s3, v16
	v_addc_co_u32_e32 v19, vcc, v17, v0, vcc
	global_load_dwordx4 v[0:3], v[16:17], off
	global_load_dwordx4 v[4:7], v[18:19], off
	global_load_dwordx4 v[8:11], v255, s[12:13]
	global_load_dwordx4 v[12:15], v255, s[12:13] offset:1232
	v_mov_b32_e32 v16, s2
	v_add_co_u32_e32 v32, vcc, s3, v18
	v_addc_co_u32_e32 v33, vcc, v19, v16, vcc
	v_add_co_u32_e32 v34, vcc, s3, v32
	v_addc_co_u32_e32 v35, vcc, v33, v16, vcc
	global_load_dwordx4 v[16:19], v[32:33], off
	global_load_dwordx4 v[20:23], v[34:35], off
	global_load_dwordx4 v[24:27], v255, s[12:13] offset:2464
	global_load_dwordx4 v[28:31], v255, s[12:13] offset:3696
	v_mov_b32_e32 v32, s2
	v_add_co_u32_e32 v36, vcc, s3, v34
	v_addc_co_u32_e32 v37, vcc, v35, v32, vcc
	s_movk_i32 s8, 0x1000
	v_add_co_u32_e32 v48, vcc, s8, v118
	v_addc_co_u32_e32 v49, vcc, 0, v119, vcc
	v_mov_b32_e32 v38, s2
	v_add_co_u32_e32 v52, vcc, s3, v36
	v_addc_co_u32_e32 v53, vcc, v37, v38, vcc
	s_movk_i32 s8, 0x2000
	v_add_co_u32_e32 v80, vcc, s8, v118
	v_addc_co_u32_e32 v81, vcc, 0, v119, vcc
	v_mov_b32_e32 v54, s2
	v_add_co_u32_e32 v56, vcc, s3, v52
	v_addc_co_u32_e32 v57, vcc, v53, v54, vcc
	global_load_dwordx4 v[32:35], v[36:37], off
	v_mov_b32_e32 v58, s2
	v_add_co_u32_e32 v60, vcc, s3, v56
	v_addc_co_u32_e32 v61, vcc, v57, v58, vcc
	global_load_dwordx4 v[36:39], v[48:49], off offset:832
	global_load_dwordx4 v[40:43], v[48:49], off offset:2064
	global_load_dwordx4 v[44:47], v[52:53], off
	v_mov_b32_e32 v62, s2
	v_add_co_u32_e32 v72, vcc, s3, v60
	v_addc_co_u32_e32 v73, vcc, v61, v62, vcc
	v_mov_b32_e32 v74, s2
	v_add_co_u32_e32 v82, vcc, s3, v72
	v_addc_co_u32_e32 v83, vcc, v73, v74, vcc
	global_load_dwordx4 v[48:51], v[48:49], off offset:3296
	v_add_co_u32_e32 v84, vcc, s3, v82
	global_load_dwordx4 v[52:55], v[56:57], off
	s_movk_i32 s8, 0x3000
	global_load_dwordx4 v[56:59], v[60:61], off
	s_nop 0
	global_load_dwordx4 v[60:63], v[72:73], off
	global_load_dwordx4 v[64:67], v[80:81], off offset:432
	global_load_dwordx4 v[68:71], v[80:81], off offset:1664
	s_nop 0
	global_load_dwordx4 v[72:75], v[82:83], off
	global_load_dwordx4 v[76:79], v[80:81], off offset:2896
	v_mov_b32_e32 v80, s2
	v_addc_co_u32_e32 v85, vcc, v83, v80, vcc
	v_add_co_u32_e32 v112, vcc, s8, v118
	v_addc_co_u32_e32 v113, vcc, 0, v119, vcc
	v_mov_b32_e32 v86, s2
	v_add_co_u32_e32 v96, vcc, s3, v84
	v_addc_co_u32_e32 v97, vcc, v85, v86, vcc
	v_mov_b32_e32 v98, s2
	v_add_co_u32_e32 v100, vcc, s3, v96
	v_addc_co_u32_e32 v101, vcc, v97, v98, vcc
	v_mov_b32_e32 v102, s2
	v_add_co_u32_e32 v114, vcc, s3, v100
	v_addc_co_u32_e32 v115, vcc, v101, v102, vcc
	global_load_dwordx4 v[80:83], v[84:85], off
	s_nop 0
	global_load_dwordx4 v[84:87], v[96:97], off
	global_load_dwordx4 v[88:91], v[112:113], off offset:32
	global_load_dwordx4 v[92:95], v[112:113], off offset:1264
	v_add_co_u32_e32 v116, vcc, s3, v114
	global_load_dwordx4 v[96:99], v[100:101], off
	s_nop 0
	global_load_dwordx4 v[100:103], v[114:115], off
	global_load_dwordx4 v[104:107], v[112:113], off offset:2496
	global_load_dwordx4 v[108:111], v[112:113], off offset:3728
	v_mov_b32_e32 v112, s2
	v_addc_co_u32_e32 v117, vcc, v115, v112, vcc
	s_movk_i32 s8, 0x4000
	v_add_co_u32_e32 v132, vcc, s8, v118
	v_addc_co_u32_e32 v133, vcc, 0, v119, vcc
	v_mov_b32_e32 v118, s2
	v_add_co_u32_e32 v128, vcc, s3, v116
	v_addc_co_u32_e32 v129, vcc, v117, v118, vcc
	global_load_dwordx4 v[112:115], v[116:117], off
	s_nop 0
	global_load_dwordx4 v[116:119], v[128:129], off
	global_load_dwordx4 v[120:123], v[132:133], off offset:864
	global_load_dwordx4 v[124:127], v[132:133], off offset:2096
	v_mov_b32_e32 v130, s2
	v_add_co_u32_e32 v128, vcc, s3, v128
	v_addc_co_u32_e32 v129, vcc, v129, v130, vcc
	global_load_dwordx4 v[128:131], v[128:129], off
	s_nop 0
	global_load_dwordx4 v[132:135], v[132:133], off offset:3328
	s_waitcnt vmcnt(31)
	v_mul_f64 v[136:137], v[2:3], v[10:11]
	v_mul_f64 v[10:11], v[0:1], v[10:11]
	s_waitcnt vmcnt(27)
	v_mul_f64 v[140:141], v[18:19], v[26:27]
	v_mul_f64 v[26:27], v[16:17], v[26:27]
	v_mul_f64 v[138:139], v[6:7], v[14:15]
	v_mul_f64 v[14:15], v[4:5], v[14:15]
	s_waitcnt vmcnt(26)
	v_mul_f64 v[142:143], v[22:23], v[30:31]
	v_mul_f64 v[30:31], v[20:21], v[30:31]
	v_fma_f64 v[0:1], v[0:1], v[8:9], v[136:137]
	v_fma_f64 v[2:3], v[2:3], v[8:9], -v[10:11]
	s_waitcnt vmcnt(24)
	v_mul_f64 v[144:145], v[34:35], v[38:39]
	v_mul_f64 v[38:39], v[32:33], v[38:39]
	s_waitcnt vmcnt(22)
	v_mul_f64 v[146:147], v[46:47], v[42:43]
	v_mul_f64 v[42:43], v[44:45], v[42:43]
	v_fma_f64 v[8:9], v[16:17], v[24:25], v[140:141]
	v_fma_f64 v[10:11], v[18:19], v[24:25], -v[26:27]
	v_fma_f64 v[4:5], v[4:5], v[12:13], v[138:139]
	v_fma_f64 v[6:7], v[6:7], v[12:13], -v[14:15]
	;; [unrolled: 2-line block ×5, first 2 shown]
	ds_write_b128 v255, v[0:3]
	s_waitcnt vmcnt(20)
	v_mul_f64 v[24:25], v[54:55], v[50:51]
	v_mul_f64 v[26:27], v[52:53], v[50:51]
	s_waitcnt vmcnt(17)
	v_mul_f64 v[28:29], v[58:59], v[66:67]
	v_mul_f64 v[30:31], v[56:57], v[66:67]
	;; [unrolled: 3-line block ×3, first 2 shown]
	v_fma_f64 v[24:25], v[52:53], v[48:49], v[24:25]
	v_fma_f64 v[26:27], v[54:55], v[48:49], -v[26:27]
	v_fma_f64 v[0:1], v[56:57], v[64:65], v[28:29]
	v_fma_f64 v[2:3], v[58:59], v[64:65], -v[30:31]
	;; [unrolled: 2-line block ×3, first 2 shown]
	ds_write_b128 v255, v[4:7] offset:1232
	ds_write_b128 v255, v[8:11] offset:2464
	;; [unrolled: 1-line block ×8, first 2 shown]
	s_waitcnt vmcnt(14)
	v_mul_f64 v[0:1], v[74:75], v[78:79]
	v_mul_f64 v[2:3], v[72:73], v[78:79]
	v_fma_f64 v[0:1], v[72:73], v[76:77], v[0:1]
	v_fma_f64 v[2:3], v[74:75], v[76:77], -v[2:3]
	s_waitcnt vmcnt(11)
	v_mul_f64 v[4:5], v[82:83], v[90:91]
	v_mul_f64 v[6:7], v[80:81], v[90:91]
	s_waitcnt vmcnt(10)
	v_mul_f64 v[8:9], v[86:87], v[94:95]
	v_mul_f64 v[10:11], v[84:85], v[94:95]
	;; [unrolled: 3-line block ×4, first 2 shown]
	v_fma_f64 v[4:5], v[80:81], v[88:89], v[4:5]
	v_fma_f64 v[6:7], v[82:83], v[88:89], -v[6:7]
	v_fma_f64 v[8:9], v[84:85], v[92:93], v[8:9]
	v_fma_f64 v[10:11], v[86:87], v[92:93], -v[10:11]
	;; [unrolled: 2-line block ×4, first 2 shown]
	s_waitcnt vmcnt(3)
	v_mul_f64 v[20:21], v[114:115], v[122:123]
	v_mul_f64 v[22:23], v[112:113], v[122:123]
	s_waitcnt vmcnt(2)
	v_mul_f64 v[24:25], v[118:119], v[126:127]
	v_mul_f64 v[26:27], v[116:117], v[126:127]
	s_waitcnt vmcnt(0)
	v_mul_f64 v[28:29], v[130:131], v[134:135]
	v_mul_f64 v[30:31], v[128:129], v[134:135]
	v_fma_f64 v[20:21], v[112:113], v[120:121], v[20:21]
	v_fma_f64 v[22:23], v[114:115], v[120:121], -v[22:23]
	v_fma_f64 v[24:25], v[116:117], v[124:125], v[24:25]
	v_fma_f64 v[26:27], v[118:119], v[124:125], -v[26:27]
	;; [unrolled: 2-line block ×3, first 2 shown]
	ds_write_b128 v255, v[0:3] offset:11088
	ds_write_b128 v255, v[4:7] offset:12320
	;; [unrolled: 1-line block ×8, first 2 shown]
.LBB0_3:
	s_or_b64 exec, exec, s[6:7]
	buffer_store_dword v148, off, s[64:67], 0 offset:8 ; 4-byte Folded Spill
	s_waitcnt vmcnt(0) lgkmcnt(0)
	s_barrier
	s_waitcnt lgkmcnt(0)
                                        ; implicit-def: $vgpr12_vgpr13
                                        ; implicit-def: $vgpr60_vgpr61
                                        ; implicit-def: $vgpr64_vgpr65
                                        ; implicit-def: $vgpr68_vgpr69
                                        ; implicit-def: $vgpr72_vgpr73
                                        ; implicit-def: $vgpr76_vgpr77
                                        ; implicit-def: $vgpr24_vgpr25
                                        ; implicit-def: $vgpr16_vgpr17
                                        ; implicit-def: $vgpr20_vgpr21
                                        ; implicit-def: $vgpr28_vgpr29
                                        ; implicit-def: $vgpr32_vgpr33
                                        ; implicit-def: $vgpr36_vgpr37
                                        ; implicit-def: $vgpr40_vgpr41
                                        ; implicit-def: $vgpr44_vgpr45
                                        ; implicit-def: $vgpr48_vgpr49
                                        ; implicit-def: $vgpr52_vgpr53
                                        ; implicit-def: $vgpr56_vgpr57
	s_and_saveexec_b64 s[2:3], s[0:1]
	s_cbranch_execz .LBB0_5
; %bb.4:
	ds_read_b128 v[12:15], v255
	ds_read_b128 v[60:63], v255 offset:1232
	ds_read_b128 v[64:67], v255 offset:2464
	;; [unrolled: 1-line block ×16, first 2 shown]
.LBB0_5:
	s_or_b64 exec, exec, s[2:3]
	s_waitcnt lgkmcnt(0)
	v_add_f64 v[2:3], v[62:63], -v[58:59]
	s_mov_b32 s40, 0x5d8e7cdc
	s_mov_b32 s41, 0xbfd71e95
	v_add_f64 v[0:1], v[60:61], -v[56:57]
	v_add_f64 v[110:111], v[66:67], -v[54:55]
	s_mov_b32 s48, 0x2a9d6da3
	s_mov_b32 s38, 0x7c9e640b
	;; [unrolled: 1-line block ×3, first 2 shown]
	v_mul_f64 v[4:5], v[2:3], s[40:41]
	s_mov_b32 s26, 0x923c349f
	s_mov_b32 s28, 0x6c9a05f6
	;; [unrolled: 1-line block ×7, first 2 shown]
	s_load_dwordx2 s[6:7], s[4:5], 0x20
	s_load_dwordx2 s[8:9], s[4:5], 0x8
	v_mul_f64 v[6:7], v[0:1], s[40:41]
	buffer_store_dword v4, off, s[64:67], 0 offset:16 ; 4-byte Folded Spill
	s_nop 0
	buffer_store_dword v5, off, s[64:67], 0 offset:20 ; 4-byte Folded Spill
	v_mul_f64 v[8:9], v[2:3], s[48:49]
	v_mul_f64 v[10:11], v[0:1], s[48:49]
	;; [unrolled: 1-line block ×10, first 2 shown]
	v_add_f64 v[108:109], v[64:65], -v[52:53]
	v_mul_f64 v[112:113], v[110:111], s[48:49]
	buffer_store_dword v6, off, s[64:67], 0 offset:32 ; 4-byte Folded Spill
	s_nop 0
	buffer_store_dword v7, off, s[64:67], 0 offset:36 ; 4-byte Folded Spill
	buffer_store_dword v8, off, s[64:67], 0 offset:48 ; 4-byte Folded Spill
	s_nop 0
	buffer_store_dword v9, off, s[64:67], 0 offset:52 ; 4-byte Folded Spill
	;; [unrolled: 3-line block ×11, first 2 shown]
	v_mul_f64 v[118:119], v[108:109], s[48:49]
	buffer_store_dword v112, off, s[64:67], 0 offset:176 ; 4-byte Folded Spill
	s_nop 0
	buffer_store_dword v113, off, s[64:67], 0 offset:180 ; 4-byte Folded Spill
	buffer_store_dword v118, off, s[64:67], 0 offset:192 ; 4-byte Folded Spill
	s_nop 0
	buffer_store_dword v119, off, s[64:67], 0 offset:196 ; 4-byte Folded Spill
	v_add_f64 v[114:115], v[60:61], v[56:57]
	s_mov_b32 s2, 0x370991
	s_mov_b32 s3, 0x3fedd6d0
	v_add_f64 v[116:117], v[62:63], v[58:59]
	v_add_f64 v[124:125], v[64:65], v[52:53]
	s_mov_b32 s22, 0x75d4884
	s_mov_b32 s23, 0x3fe7a5f6
	v_add_f64 v[126:127], v[66:67], v[54:55]
	s_mov_b32 s10, 0x3259b75e
	s_mov_b32 s11, 0x3fb79ee6
	;; [unrolled: 1-line block ×20, first 2 shown]
	v_mul_f64 v[96:97], v[2:3], s[34:35]
	s_mov_b32 s31, 0x3feca52d
	s_mov_b32 s30, s38
	v_mul_f64 v[100:101], v[0:1], s[34:35]
	v_mul_f64 v[2:3], v[2:3], s[36:37]
	s_mov_b32 s47, 0x3fd71e95
	s_mov_b32 s46, s40
	v_mul_f64 v[0:1], v[0:1], s[36:37]
	v_fma_f64 v[98:99], v[114:115], s[16:17], -v[96:97]
	v_fma_f64 v[96:97], v[114:115], s[16:17], v[96:97]
	v_add_f64 v[152:153], v[68:69], v[48:49]
	v_fma_f64 v[102:103], v[116:117], s[16:17], v[100:101]
	v_fma_f64 v[100:101], v[116:117], s[16:17], -v[100:101]
	v_fma_f64 v[104:105], v[114:115], s[20:21], -v[2:3]
	v_fma_f64 v[2:3], v[114:115], s[20:21], v[2:3]
	v_fma_f64 v[106:107], v[116:117], s[20:21], v[0:1]
	v_add_f64 v[98:99], v[12:13], v[98:99]
	v_add_f64 v[96:97], v[12:13], v[96:97]
	v_fma_f64 v[4:5], v[114:115], s[2:3], v[4:5]
	v_fma_f64 v[0:1], v[116:117], s[20:21], -v[0:1]
	v_add_f64 v[100:101], v[14:15], v[100:101]
	v_add_f64 v[104:105], v[12:13], v[104:105]
	v_add_f64 v[2:3], v[12:13], v[2:3]
	v_add_f64 v[106:107], v[14:15], v[106:107]
	v_add_f64 v[154:155], v[70:71], v[50:51]
	s_mov_b32 s45, 0x3fc7851a
	v_add_f64 v[4:5], v[12:13], v[4:5]
	v_add_f64 v[0:1], v[14:15], v[0:1]
	s_mov_b32 s44, s36
	v_add_f64 v[102:103], v[14:15], v[102:103]
	v_add_f64 v[178:179], v[72:73], v[44:45]
	v_fma_f64 v[6:7], v[116:117], s[2:3], -v[6:7]
	v_fma_f64 v[8:9], v[114:115], s[22:23], v[8:9]
	v_fma_f64 v[10:11], v[116:117], s[22:23], -v[10:11]
	v_fma_f64 v[80:81], v[114:115], s[4:5], v[80:81]
	;; [unrolled: 2-line block ×4, first 2 shown]
	v_add_f64 v[6:7], v[14:15], v[6:7]
	v_add_f64 v[8:9], v[12:13], v[8:9]
	v_add_f64 v[10:11], v[14:15], v[10:11]
	v_add_f64 v[80:81], v[12:13], v[80:81]
	v_fma_f64 v[112:113], v[124:125], s[22:23], v[112:113]
	v_add_f64 v[82:83], v[14:15], v[82:83]
	v_add_f64 v[84:85], v[12:13], v[84:85]
	;; [unrolled: 1-line block ×4, first 2 shown]
	v_fma_f64 v[90:91], v[116:117], s[18:19], -v[90:91]
	v_fma_f64 v[92:93], v[114:115], s[24:25], v[92:93]
	v_fma_f64 v[94:95], v[116:117], s[24:25], -v[94:95]
	v_add_f64 v[4:5], v[112:113], v[4:5]
	v_fma_f64 v[112:113], v[126:127], s[22:23], -v[118:119]
	v_mul_f64 v[118:119], v[108:109], s[42:43]
	v_add_f64 v[180:181], v[74:75], v[46:47]
	s_mov_b32 s55, 0x3fe9895b
	v_add_f64 v[90:91], v[14:15], v[90:91]
	v_add_f64 v[92:93], v[12:13], v[92:93]
	;; [unrolled: 1-line block ×3, first 2 shown]
	s_mov_b32 s54, s28
	v_add_f64 v[6:7], v[112:113], v[6:7]
	v_mul_f64 v[112:113], v[110:111], s[42:43]
	buffer_store_dword v112, off, s[64:67], 0 offset:200 ; 4-byte Folded Spill
	s_nop 0
	buffer_store_dword v113, off, s[64:67], 0 offset:204 ; 4-byte Folded Spill
	buffer_store_dword v118, off, s[64:67], 0 offset:240 ; 4-byte Folded Spill
	s_nop 0
	buffer_store_dword v119, off, s[64:67], 0 offset:244 ; 4-byte Folded Spill
	v_add_f64 v[207:208], v[76:77], v[40:41]
	v_add_f64 v[209:210], v[78:79], v[42:43]
	;; [unrolled: 1-line block ×4, first 2 shown]
	v_add_f64 v[156:157], v[18:19], -v[34:35]
	v_add_f64 v[150:151], v[16:17], -v[32:33]
	;; [unrolled: 1-line block ×4, first 2 shown]
	v_mul_f64 v[166:167], v[156:157], s[54:55]
	v_mul_f64 v[140:141], v[150:151], s[30:31]
	;; [unrolled: 1-line block ×14, first 2 shown]
	v_fma_f64 v[112:113], v[124:125], s[10:11], v[112:113]
	v_add_f64 v[8:9], v[112:113], v[8:9]
	v_fma_f64 v[112:113], v[126:127], s[10:11], -v[118:119]
	v_mul_f64 v[118:119], v[108:109], s[28:29]
	v_add_f64 v[10:11], v[112:113], v[10:11]
	v_mul_f64 v[112:113], v[110:111], s[28:29]
	buffer_store_dword v112, off, s[64:67], 0 offset:248 ; 4-byte Folded Spill
	s_nop 0
	buffer_store_dword v113, off, s[64:67], 0 offset:252 ; 4-byte Folded Spill
	buffer_store_dword v118, off, s[64:67], 0 offset:256 ; 4-byte Folded Spill
	s_nop 0
	buffer_store_dword v119, off, s[64:67], 0 offset:260 ; 4-byte Folded Spill
	v_fma_f64 v[112:113], v[124:125], s[24:25], v[112:113]
	v_add_f64 v[80:81], v[112:113], v[80:81]
	v_fma_f64 v[112:113], v[126:127], s[24:25], -v[118:119]
	v_mul_f64 v[118:119], v[108:109], s[36:37]
	v_add_f64 v[82:83], v[112:113], v[82:83]
	v_mul_f64 v[112:113], v[110:111], s[36:37]
	buffer_store_dword v112, off, s[64:67], 0 offset:264 ; 4-byte Folded Spill
	s_nop 0
	buffer_store_dword v113, off, s[64:67], 0 offset:268 ; 4-byte Folded Spill
	buffer_store_dword v118, off, s[64:67], 0 offset:280 ; 4-byte Folded Spill
	s_nop 0
	buffer_store_dword v119, off, s[64:67], 0 offset:284 ; 4-byte Folded Spill
	;; [unrolled: 12-line block ×4, first 2 shown]
	v_fma_f64 v[112:113], v[124:125], s[18:19], v[112:113]
	v_add_f64 v[92:93], v[112:113], v[92:93]
	v_fma_f64 v[112:113], v[126:127], s[18:19], -v[118:119]
	v_add_f64 v[94:95], v[112:113], v[94:95]
	v_mul_f64 v[112:113], v[110:111], s[30:31]
	v_mul_f64 v[110:111], v[110:111], s[46:47]
	v_fma_f64 v[118:119], v[124:125], s[4:5], -v[112:113]
	v_fma_f64 v[112:113], v[124:125], s[4:5], v[112:113]
	v_add_f64 v[98:99], v[118:119], v[98:99]
	v_mul_f64 v[118:119], v[108:109], s[30:31]
	v_add_f64 v[96:97], v[112:113], v[96:97]
	v_mul_f64 v[108:109], v[108:109], s[46:47]
	v_fma_f64 v[112:113], v[126:127], s[4:5], -v[118:119]
	v_fma_f64 v[120:121], v[126:127], s[4:5], v[118:119]
	v_add_f64 v[100:101], v[112:113], v[100:101]
	v_fma_f64 v[112:113], v[124:125], s[2:3], -v[110:111]
	v_fma_f64 v[110:111], v[124:125], s[2:3], v[110:111]
	v_add_f64 v[102:103], v[120:121], v[102:103]
	v_add_f64 v[104:105], v[112:113], v[104:105]
	v_fma_f64 v[112:113], v[126:127], s[2:3], v[108:109]
	v_add_f64 v[2:3], v[110:111], v[2:3]
	v_fma_f64 v[108:109], v[126:127], s[2:3], -v[108:109]
	v_add_f64 v[110:111], v[70:71], -v[50:51]
	v_add_f64 v[106:107], v[112:113], v[106:107]
	v_add_f64 v[0:1], v[108:109], v[0:1]
	v_add_f64 v[108:109], v[68:69], -v[48:49]
	v_mul_f64 v[112:113], v[110:111], s[38:39]
	buffer_store_dword v112, off, s[64:67], 0 offset:288 ; 4-byte Folded Spill
	s_nop 0
	buffer_store_dword v113, off, s[64:67], 0 offset:292 ; 4-byte Folded Spill
	v_mul_f64 v[118:119], v[108:109], s[38:39]
	buffer_store_dword v118, off, s[64:67], 0 offset:304 ; 4-byte Folded Spill
	s_nop 0
	buffer_store_dword v119, off, s[64:67], 0 offset:308 ; 4-byte Folded Spill
	v_fma_f64 v[112:113], v[152:153], s[4:5], v[112:113]
	v_add_f64 v[4:5], v[112:113], v[4:5]
	v_fma_f64 v[112:113], v[154:155], s[4:5], -v[118:119]
	v_mul_f64 v[118:119], v[108:109], s[28:29]
	v_add_f64 v[6:7], v[112:113], v[6:7]
	v_mul_f64 v[112:113], v[110:111], s[28:29]
	buffer_store_dword v112, off, s[64:67], 0 offset:312 ; 4-byte Folded Spill
	s_nop 0
	buffer_store_dword v113, off, s[64:67], 0 offset:316 ; 4-byte Folded Spill
	buffer_store_dword v118, off, s[64:67], 0 offset:368 ; 4-byte Folded Spill
	s_nop 0
	buffer_store_dword v119, off, s[64:67], 0 offset:372 ; 4-byte Folded Spill
	v_fma_f64 v[112:113], v[152:153], s[24:25], v[112:113]
	v_add_f64 v[8:9], v[112:113], v[8:9]
	v_fma_f64 v[112:113], v[154:155], s[24:25], -v[118:119]
	v_mul_f64 v[118:119], v[108:109], s[44:45]
	v_add_f64 v[10:11], v[112:113], v[10:11]
	v_mul_f64 v[112:113], v[110:111], s[44:45]
	buffer_store_dword v112, off, s[64:67], 0 offset:376 ; 4-byte Folded Spill
	s_nop 0
	buffer_store_dword v113, off, s[64:67], 0 offset:380 ; 4-byte Folded Spill
	buffer_store_dword v118, off, s[64:67], 0 offset:392 ; 4-byte Folded Spill
	s_nop 0
	buffer_store_dword v119, off, s[64:67], 0 offset:396 ; 4-byte Folded Spill
	s_mov_b32 s45, 0x3fe58eea
	s_mov_b32 s44, s48
	v_fma_f64 v[112:113], v[152:153], s[20:21], v[112:113]
	v_add_f64 v[80:81], v[112:113], v[80:81]
	v_fma_f64 v[112:113], v[154:155], s[20:21], -v[118:119]
	v_mul_f64 v[118:119], v[108:109], s[50:51]
	v_add_f64 v[82:83], v[112:113], v[82:83]
	v_mul_f64 v[112:113], v[110:111], s[50:51]
	buffer_store_dword v112, off, s[64:67], 0 offset:400 ; 4-byte Folded Spill
	s_nop 0
	buffer_store_dword v113, off, s[64:67], 0 offset:404 ; 4-byte Folded Spill
	buffer_store_dword v118, off, s[64:67], 0 offset:424 ; 4-byte Folded Spill
	s_nop 0
	buffer_store_dword v119, off, s[64:67], 0 offset:428 ; 4-byte Folded Spill
	v_fma_f64 v[112:113], v[152:153], s[18:19], v[112:113]
	v_add_f64 v[84:85], v[112:113], v[84:85]
	v_fma_f64 v[112:113], v[154:155], s[18:19], -v[118:119]
	v_mul_f64 v[118:119], v[108:109], s[44:45]
	v_add_f64 v[86:87], v[112:113], v[86:87]
	v_mul_f64 v[112:113], v[110:111], s[44:45]
	buffer_store_dword v112, off, s[64:67], 0 offset:440 ; 4-byte Folded Spill
	s_nop 0
	buffer_store_dword v113, off, s[64:67], 0 offset:444 ; 4-byte Folded Spill
	buffer_store_dword v118, off, s[64:67], 0 offset:448 ; 4-byte Folded Spill
	s_nop 0
	buffer_store_dword v119, off, s[64:67], 0 offset:452 ; 4-byte Folded Spill
	;; [unrolled: 12-line block ×3, first 2 shown]
	v_fma_f64 v[112:113], v[152:153], s[2:3], v[112:113]
	v_add_f64 v[92:93], v[112:113], v[92:93]
	v_fma_f64 v[112:113], v[154:155], s[2:3], -v[118:119]
	v_add_f64 v[94:95], v[112:113], v[94:95]
	v_mul_f64 v[112:113], v[110:111], s[42:43]
	v_mul_f64 v[110:111], v[110:111], s[34:35]
	v_fma_f64 v[118:119], v[152:153], s[10:11], -v[112:113]
	v_fma_f64 v[112:113], v[152:153], s[10:11], v[112:113]
	v_add_f64 v[98:99], v[118:119], v[98:99]
	v_mul_f64 v[118:119], v[108:109], s[42:43]
	v_add_f64 v[96:97], v[112:113], v[96:97]
	v_mul_f64 v[108:109], v[108:109], s[34:35]
	v_fma_f64 v[112:113], v[154:155], s[10:11], -v[118:119]
	v_fma_f64 v[120:121], v[154:155], s[10:11], v[118:119]
	v_add_f64 v[100:101], v[112:113], v[100:101]
	v_fma_f64 v[112:113], v[152:153], s[16:17], -v[110:111]
	v_fma_f64 v[110:111], v[152:153], s[16:17], v[110:111]
	v_add_f64 v[102:103], v[120:121], v[102:103]
	v_add_f64 v[104:105], v[112:113], v[104:105]
	v_fma_f64 v[112:113], v[154:155], s[16:17], v[108:109]
	v_add_f64 v[2:3], v[110:111], v[2:3]
	v_fma_f64 v[108:109], v[154:155], s[16:17], -v[108:109]
	v_add_f64 v[110:111], v[74:75], -v[46:47]
	v_add_f64 v[106:107], v[112:113], v[106:107]
	v_add_f64 v[0:1], v[108:109], v[0:1]
	v_add_f64 v[108:109], v[72:73], -v[44:45]
	v_mul_f64 v[112:113], v[110:111], s[42:43]
	buffer_store_dword v112, off, s[64:67], 0 offset:408 ; 4-byte Folded Spill
	s_nop 0
	buffer_store_dword v113, off, s[64:67], 0 offset:412 ; 4-byte Folded Spill
	v_mul_f64 v[118:119], v[108:109], s[42:43]
	buffer_store_dword v118, off, s[64:67], 0 offset:416 ; 4-byte Folded Spill
	s_nop 0
	buffer_store_dword v119, off, s[64:67], 0 offset:420 ; 4-byte Folded Spill
	v_mul_f64 v[221:222], v[108:109], s[46:47]
	v_mul_f64 v[223:224], v[110:111], s[38:39]
	v_mul_f64 v[225:226], v[108:109], s[38:39]
	v_mul_f64 v[229:230], v[110:111], s[34:35]
	v_mul_f64 v[231:232], v[108:109], s[34:35]
	v_fma_f64 v[112:113], v[178:179], s[10:11], v[112:113]
	v_add_f64 v[4:5], v[112:113], v[4:5]
	v_fma_f64 v[112:113], v[180:181], s[10:11], -v[118:119]
	v_mul_f64 v[118:119], v[108:109], s[36:37]
	v_add_f64 v[6:7], v[112:113], v[6:7]
	v_mul_f64 v[112:113], v[110:111], s[36:37]
	buffer_store_dword v112, off, s[64:67], 0 offset:432 ; 4-byte Folded Spill
	s_nop 0
	buffer_store_dword v113, off, s[64:67], 0 offset:436 ; 4-byte Folded Spill
	buffer_store_dword v118, off, s[64:67], 0 offset:472 ; 4-byte Folded Spill
	s_nop 0
	buffer_store_dword v119, off, s[64:67], 0 offset:476 ; 4-byte Folded Spill
	v_fma_f64 v[112:113], v[178:179], s[20:21], v[112:113]
	v_add_f64 v[8:9], v[112:113], v[8:9]
	v_fma_f64 v[112:113], v[180:181], s[20:21], -v[118:119]
	v_mul_f64 v[118:119], v[108:109], s[50:51]
	v_add_f64 v[10:11], v[112:113], v[10:11]
	v_mul_f64 v[112:113], v[110:111], s[50:51]
	buffer_store_dword v112, off, s[64:67], 0 offset:480 ; 4-byte Folded Spill
	s_nop 0
	buffer_store_dword v113, off, s[64:67], 0 offset:484 ; 4-byte Folded Spill
	buffer_store_dword v118, off, s[64:67], 0 offset:488 ; 4-byte Folded Spill
	s_nop 0
	buffer_store_dword v119, off, s[64:67], 0 offset:492 ; 4-byte Folded Spill
	v_fma_f64 v[112:113], v[178:179], s[18:19], v[112:113]
	v_add_f64 v[80:81], v[112:113], v[80:81]
	v_fma_f64 v[112:113], v[180:181], s[18:19], -v[118:119]
	v_add_f64 v[82:83], v[112:113], v[82:83]
	v_mul_f64 v[112:113], v[110:111], s[46:47]
	buffer_store_dword v112, off, s[64:67], 0 offset:512 ; 4-byte Folded Spill
	s_nop 0
	buffer_store_dword v113, off, s[64:67], 0 offset:516 ; 4-byte Folded Spill
	v_fma_f64 v[112:113], v[178:179], s[2:3], v[112:113]
	v_add_f64 v[84:85], v[112:113], v[84:85]
	v_fma_f64 v[112:113], v[180:181], s[2:3], -v[221:222]
	v_add_f64 v[86:87], v[112:113], v[86:87]
	v_fma_f64 v[112:113], v[178:179], s[4:5], v[223:224]
	v_add_f64 v[88:89], v[112:113], v[88:89]
	v_fma_f64 v[112:113], v[180:181], s[4:5], -v[225:226]
	v_add_f64 v[90:91], v[112:113], v[90:91]
	v_fma_f64 v[112:113], v[178:179], s[16:17], v[229:230]
	v_add_f64 v[92:93], v[112:113], v[92:93]
	v_fma_f64 v[112:113], v[180:181], s[16:17], -v[231:232]
	v_add_f64 v[94:95], v[112:113], v[94:95]
	v_mul_f64 v[112:113], v[110:111], s[54:55]
	v_mul_f64 v[110:111], v[110:111], s[44:45]
	v_fma_f64 v[118:119], v[178:179], s[24:25], -v[112:113]
	v_fma_f64 v[112:113], v[178:179], s[24:25], v[112:113]
	v_add_f64 v[98:99], v[118:119], v[98:99]
	v_mul_f64 v[118:119], v[108:109], s[54:55]
	v_add_f64 v[96:97], v[112:113], v[96:97]
	v_mul_f64 v[108:109], v[108:109], s[44:45]
	v_fma_f64 v[112:113], v[180:181], s[24:25], -v[118:119]
	v_fma_f64 v[120:121], v[180:181], s[24:25], v[118:119]
	v_add_f64 v[100:101], v[112:113], v[100:101]
	v_fma_f64 v[112:113], v[178:179], s[22:23], -v[110:111]
	v_add_f64 v[102:103], v[120:121], v[102:103]
	v_fma_f64 v[110:111], v[178:179], s[22:23], v[110:111]
	v_add_f64 v[120:121], v[78:79], -v[42:43]
	v_add_f64 v[104:105], v[112:113], v[104:105]
	v_fma_f64 v[112:113], v[180:181], s[22:23], v[108:109]
	v_fma_f64 v[108:109], v[180:181], s[22:23], -v[108:109]
	v_add_f64 v[2:3], v[110:111], v[2:3]
	v_add_f64 v[110:111], v[76:77], -v[40:41]
	v_mul_f64 v[237:238], v[120:121], s[44:45]
	v_mul_f64 v[245:246], v[120:121], s[38:39]
	;; [unrolled: 1-line block ×3, first 2 shown]
	v_add_f64 v[106:107], v[112:113], v[106:107]
	v_add_f64 v[0:1], v[108:109], v[0:1]
	v_mul_f64 v[108:109], v[120:121], s[26:27]
	v_mul_f64 v[112:113], v[110:111], s[26:27]
	buffer_store_dword v108, off, s[64:67], 0 offset:496 ; 4-byte Folded Spill
	s_nop 0
	buffer_store_dword v109, off, s[64:67], 0 offset:500 ; 4-byte Folded Spill
	buffer_store_dword v112, off, s[64:67], 0 offset:504 ; 4-byte Folded Spill
	s_nop 0
	buffer_store_dword v113, off, s[64:67], 0 offset:508 ; 4-byte Folded Spill
	v_mul_f64 v[227:228], v[110:111], s[52:53]
	v_mul_f64 v[239:240], v[110:111], s[44:45]
	;; [unrolled: 1-line block ×3, first 2 shown]
	s_mov_b32 s39, 0x3fefdd0d
	s_mov_b32 s38, s42
	v_mul_f64 v[118:119], v[110:111], s[38:39]
	v_fma_f64 v[108:109], v[207:208], s[18:19], v[108:109]
	v_add_f64 v[4:5], v[108:109], v[4:5]
	v_fma_f64 v[108:109], v[209:210], s[18:19], -v[112:113]
	v_fma_f64 v[112:113], v[207:208], s[20:21], v[251:252]
	v_add_f64 v[6:7], v[108:109], v[6:7]
	v_mul_f64 v[108:109], v[120:121], s[52:53]
	buffer_store_dword v108, off, s[64:67], 0 offset:520 ; 4-byte Folded Spill
	s_nop 0
	buffer_store_dword v109, off, s[64:67], 0 offset:524 ; 4-byte Folded Spill
	v_add_f64 v[88:89], v[112:113], v[88:89]
	s_waitcnt vmcnt(0) lgkmcnt(0)
	s_barrier
	v_fma_f64 v[108:109], v[207:208], s[16:17], v[108:109]
	v_add_f64 v[8:9], v[108:109], v[8:9]
	v_fma_f64 v[108:109], v[209:210], s[16:17], -v[227:228]
	v_add_f64 v[10:11], v[108:109], v[10:11]
	v_fma_f64 v[108:109], v[207:208], s[22:23], v[237:238]
	v_add_f64 v[80:81], v[108:109], v[80:81]
	v_fma_f64 v[108:109], v[209:210], s[22:23], -v[239:240]
	v_add_f64 v[82:83], v[108:109], v[82:83]
	;; [unrolled: 4-line block ×3, first 2 shown]
	v_mul_f64 v[108:109], v[110:111], s[36:37]
	v_fma_f64 v[112:113], v[209:210], s[20:21], -v[108:109]
	v_add_f64 v[90:91], v[112:113], v[90:91]
	v_mul_f64 v[112:113], v[120:121], s[38:39]
	v_fma_f64 v[122:123], v[207:208], s[10:11], v[112:113]
	v_add_f64 v[92:93], v[122:123], v[92:93]
	v_fma_f64 v[122:123], v[209:210], s[10:11], -v[118:119]
	v_add_f64 v[94:95], v[122:123], v[94:95]
	v_mul_f64 v[122:123], v[120:121], s[40:41]
	v_mul_f64 v[120:121], v[120:121], s[28:29]
	v_fma_f64 v[128:129], v[207:208], s[2:3], -v[122:123]
	v_fma_f64 v[122:123], v[207:208], s[2:3], v[122:123]
	v_add_f64 v[98:99], v[128:129], v[98:99]
	v_mul_f64 v[128:129], v[110:111], s[40:41]
	v_add_f64 v[96:97], v[122:123], v[96:97]
	v_mul_f64 v[110:111], v[110:111], s[28:29]
	v_fma_f64 v[122:123], v[209:210], s[2:3], -v[128:129]
	v_fma_f64 v[130:131], v[209:210], s[2:3], v[128:129]
	v_add_f64 v[100:101], v[122:123], v[100:101]
	v_fma_f64 v[122:123], v[207:208], s[24:25], -v[120:121]
	v_fma_f64 v[120:121], v[207:208], s[24:25], v[120:121]
	v_add_f64 v[102:103], v[130:131], v[102:103]
	v_add_f64 v[104:105], v[122:123], v[104:105]
	v_fma_f64 v[122:123], v[209:210], s[24:25], v[110:111]
	v_add_f64 v[2:3], v[120:121], v[2:3]
	v_fma_f64 v[110:111], v[209:210], s[24:25], -v[110:111]
	v_add_f64 v[120:121], v[24:25], -v[36:37]
	v_add_f64 v[106:107], v[122:123], v[106:107]
	v_add_f64 v[122:123], v[26:27], -v[38:39]
	v_add_f64 v[0:1], v[110:111], v[0:1]
	v_mul_f64 v[243:244], v[120:121], s[28:29]
	v_mul_f64 v[138:139], v[120:121], s[34:35]
	;; [unrolled: 1-line block ×10, first 2 shown]
	v_fma_f64 v[110:111], v[233:234], s[24:25], v[241:242]
	v_fma_f64 v[128:129], v[233:234], s[18:19], v[247:248]
	;; [unrolled: 1-line block ×3, first 2 shown]
	v_add_f64 v[4:5], v[110:111], v[4:5]
	v_fma_f64 v[110:111], v[235:236], s[24:25], -v[243:244]
	v_add_f64 v[8:9], v[128:129], v[8:9]
	v_add_f64 v[80:81], v[130:131], v[80:81]
	;; [unrolled: 1-line block ×3, first 2 shown]
	v_mul_f64 v[110:111], v[120:121], s[50:51]
	v_fma_f64 v[128:129], v[235:236], s[18:19], -v[110:111]
	v_add_f64 v[10:11], v[128:129], v[10:11]
	v_mul_f64 v[128:129], v[120:121], s[40:41]
	v_fma_f64 v[130:131], v[235:236], s[2:3], -v[128:129]
	v_add_f64 v[82:83], v[130:131], v[82:83]
	v_fma_f64 v[130:131], v[233:234], s[16:17], v[136:137]
	v_add_f64 v[84:85], v[130:131], v[84:85]
	v_fma_f64 v[130:131], v[235:236], s[16:17], -v[138:139]
	v_add_f64 v[86:87], v[130:131], v[86:87]
	v_fma_f64 v[130:131], v[233:234], s[10:11], v[144:145]
	v_add_f64 v[88:89], v[130:131], v[88:89]
	v_fma_f64 v[130:131], v[235:236], s[10:11], -v[146:147]
	v_add_f64 v[90:91], v[130:131], v[90:91]
	v_fma_f64 v[130:131], v[233:234], s[22:23], v[148:149]
	v_add_f64 v[92:93], v[130:131], v[92:93]
	v_fma_f64 v[130:131], v[235:236], s[22:23], -v[158:159]
	v_add_f64 v[94:95], v[130:131], v[94:95]
	v_mul_f64 v[130:131], v[122:123], s[36:37]
	v_mul_f64 v[122:123], v[122:123], s[30:31]
	v_fma_f64 v[132:133], v[233:234], s[20:21], -v[130:131]
	v_fma_f64 v[130:131], v[233:234], s[20:21], v[130:131]
	v_add_f64 v[98:99], v[132:133], v[98:99]
	v_mul_f64 v[132:133], v[120:121], s[36:37]
	v_add_f64 v[96:97], v[130:131], v[96:97]
	v_mul_f64 v[120:121], v[120:121], s[30:31]
	v_fma_f64 v[130:131], v[235:236], s[20:21], -v[132:133]
	v_fma_f64 v[134:135], v[235:236], s[20:21], v[132:133]
	v_mul_f64 v[132:133], v[150:151], s[34:35]
	v_add_f64 v[100:101], v[130:131], v[100:101]
	v_fma_f64 v[130:131], v[233:234], s[4:5], -v[122:123]
	v_fma_f64 v[122:123], v[233:234], s[4:5], v[122:123]
	v_add_f64 v[102:103], v[134:135], v[102:103]
	v_add_f64 v[104:105], v[130:131], v[104:105]
	v_fma_f64 v[130:131], v[235:236], s[4:5], v[120:121]
	v_fma_f64 v[120:121], v[235:236], s[4:5], -v[120:121]
	v_add_f64 v[2:3], v[122:123], v[2:3]
	v_add_f64 v[122:123], v[18:19], v[34:35]
	v_add_f64 v[106:107], v[130:131], v[106:107]
	v_add_f64 v[0:1], v[120:121], v[0:1]
	v_add_f64 v[120:121], v[16:17], v[32:33]
	v_mul_f64 v[130:131], v[156:157], s[34:35]
	v_fma_f64 v[134:135], v[120:121], s[16:17], v[130:131]
	v_add_f64 v[4:5], v[134:135], v[4:5]
	v_fma_f64 v[134:135], v[122:123], s[16:17], -v[132:133]
	v_add_f64 v[6:7], v[134:135], v[6:7]
	v_mul_f64 v[134:135], v[156:157], s[30:31]
	v_fma_f64 v[142:143], v[120:121], s[4:5], v[134:135]
	v_add_f64 v[8:9], v[142:143], v[8:9]
	v_fma_f64 v[142:143], v[122:123], s[4:5], -v[140:141]
	v_add_f64 v[10:11], v[142:143], v[10:11]
	v_mul_f64 v[142:143], v[156:157], s[42:43]
	v_fma_f64 v[162:163], v[120:121], s[10:11], v[142:143]
	v_add_f64 v[190:191], v[162:163], v[80:81]
	v_fma_f64 v[80:81], v[122:123], s[10:11], -v[160:161]
	v_mul_f64 v[162:163], v[156:157], s[44:45]
	v_mul_f64 v[156:157], v[156:157], s[26:27]
	v_add_f64 v[192:193], v[80:81], v[82:83]
	v_fma_f64 v[80:81], v[120:121], s[24:25], v[166:167]
	v_fma_f64 v[82:83], v[122:123], s[24:25], -v[168:169]
	v_add_f64 v[80:81], v[80:81], v[84:85]
	v_fma_f64 v[84:85], v[120:121], s[2:3], v[170:171]
	v_add_f64 v[82:83], v[82:83], v[86:87]
	v_fma_f64 v[86:87], v[122:123], s[2:3], -v[172:173]
	v_add_f64 v[84:85], v[84:85], v[88:89]
	v_fma_f64 v[88:89], v[120:121], s[20:21], v[176:177]
	v_add_f64 v[86:87], v[86:87], v[90:91]
	v_add_f64 v[92:93], v[88:89], v[92:93]
	v_fma_f64 v[88:89], v[122:123], s[20:21], -v[182:183]
	v_add_f64 v[94:95], v[88:89], v[94:95]
	v_fma_f64 v[88:89], v[120:121], s[22:23], -v[162:163]
	v_add_f64 v[88:89], v[88:89], v[98:99]
	v_mul_f64 v[98:99], v[150:151], s[44:45]
	v_mul_f64 v[150:151], v[150:151], s[26:27]
	v_fma_f64 v[90:91], v[122:123], s[22:23], v[98:99]
	v_fma_f64 v[98:99], v[122:123], s[22:23], -v[98:99]
	v_add_f64 v[90:91], v[90:91], v[102:103]
	v_add_f64 v[98:99], v[98:99], v[100:101]
	v_fma_f64 v[100:101], v[120:121], s[18:19], -v[156:157]
	v_fma_f64 v[102:103], v[120:121], s[22:23], v[162:163]
	v_mul_f64 v[162:163], v[200:201], s[36:37]
	v_add_f64 v[100:101], v[100:101], v[104:105]
	v_fma_f64 v[104:105], v[120:121], s[18:19], v[156:157]
	v_add_f64 v[96:97], v[102:103], v[96:97]
	v_fma_f64 v[102:103], v[122:123], s[18:19], v[150:151]
	v_add_f64 v[156:157], v[22:23], v[30:31]
	v_add_f64 v[104:105], v[104:105], v[2:3]
	v_fma_f64 v[2:3], v[122:123], s[18:19], -v[150:151]
	v_add_f64 v[150:151], v[20:21], v[28:29]
	v_add_f64 v[102:103], v[102:103], v[106:107]
	;; [unrolled: 1-line block ×3, first 2 shown]
	v_fma_f64 v[0:1], v[150:151], s[20:21], v[162:163]
	v_fma_f64 v[2:3], v[156:157], s[20:21], -v[164:165]
	v_add_f64 v[0:1], v[0:1], v[4:5]
	v_fma_f64 v[4:5], v[150:151], s[2:3], v[174:175]
	v_add_f64 v[2:3], v[2:3], v[6:7]
	v_fma_f64 v[6:7], v[156:157], s[2:3], -v[184:185]
	v_add_f64 v[196:197], v[4:5], v[8:9]
	v_fma_f64 v[8:9], v[150:151], s[16:17], v[186:187]
	v_add_f64 v[198:199], v[6:7], v[10:11]
	v_fma_f64 v[10:11], v[156:157], s[16:17], -v[188:189]
	v_mov_b32_e32 v7, v3
	v_mov_b32_e32 v6, v2
	;; [unrolled: 1-line block ×4, first 2 shown]
	v_add_f64 v[217:218], v[8:9], v[190:191]
	v_mul_f64 v[190:191], v[200:201], s[44:45]
	v_add_f64 v[219:220], v[10:11], v[192:193]
	v_mov_b32_e32 v8, v196
	v_mov_b32_e32 v9, v197
	;; [unrolled: 1-line block ×4, first 2 shown]
	v_mul_f64 v[192:193], v[194:195], s[44:45]
	v_mul_f64 v[198:199], v[194:195], s[28:29]
	v_fma_f64 v[196:197], v[150:151], s[22:23], v[190:191]
	v_add_f64 v[80:81], v[196:197], v[80:81]
	v_fma_f64 v[196:197], v[156:157], s[22:23], -v[192:193]
	v_add_f64 v[82:83], v[196:197], v[82:83]
	v_mul_f64 v[196:197], v[200:201], s[28:29]
	v_fma_f64 v[202:203], v[150:151], s[24:25], v[196:197]
	v_add_f64 v[84:85], v[202:203], v[84:85]
	v_fma_f64 v[202:203], v[156:157], s[24:25], -v[198:199]
	v_add_f64 v[86:87], v[202:203], v[86:87]
	;; [unrolled: 5-line block ×3, first 2 shown]
	v_mul_f64 v[211:212], v[200:201], s[26:27]
	v_mul_f64 v[200:201], v[200:201], s[38:39]
	v_fma_f64 v[213:214], v[150:151], s[18:19], -v[211:212]
	v_fma_f64 v[211:212], v[150:151], s[18:19], v[211:212]
	v_add_f64 v[88:89], v[213:214], v[88:89]
	v_mul_f64 v[213:214], v[194:195], s[26:27]
	v_add_f64 v[96:97], v[211:212], v[96:97]
	v_mul_f64 v[194:195], v[194:195], s[38:39]
	v_fma_f64 v[211:212], v[156:157], s[18:19], -v[213:214]
	v_fma_f64 v[215:216], v[156:157], s[18:19], v[213:214]
	v_add_f64 v[98:99], v[211:212], v[98:99]
	v_fma_f64 v[211:212], v[150:151], s[10:11], -v[200:201]
	v_fma_f64 v[200:201], v[150:151], s[10:11], v[200:201]
	v_add_f64 v[90:91], v[215:216], v[90:91]
	v_add_f64 v[100:101], v[211:212], v[100:101]
	v_fma_f64 v[211:212], v[156:157], s[10:11], v[194:195]
	v_fma_f64 v[194:195], v[156:157], s[10:11], -v[194:195]
	v_add_f64 v[104:105], v[200:201], v[104:105]
	v_add_f64 v[102:103], v[211:212], v[102:103]
	;; [unrolled: 1-line block ×3, first 2 shown]
	buffer_load_dword v194, off, s[64:67], 0 offset:8 ; 4-byte Folded Reload
	s_waitcnt vmcnt(0)
	v_mul_lo_u16_e32 v0, 17, v194
	buffer_store_dword v0, off, s[64:67], 0 offset:12 ; 4-byte Folded Spill
	s_and_saveexec_b64 s[26:27], s[0:1]
	s_cbranch_execz .LBB0_7
; %bb.6:
	buffer_load_dword v0, off, s[64:67], 0 offset:464 ; 4-byte Folded Reload
	buffer_load_dword v1, off, s[64:67], 0 offset:468 ; 4-byte Folded Reload
	v_add_f64 v[62:63], v[14:15], v[62:63]
	v_add_f64 v[60:61], v[12:13], v[60:61]
	v_mul_f64 v[194:195], v[207:208], s[18:19]
	v_mul_f64 v[200:201], v[209:210], s[16:17]
	v_add_f64 v[62:63], v[62:63], v[66:67]
	v_add_f64 v[60:61], v[60:61], v[64:65]
	v_mul_f64 v[64:65], v[122:123], s[20:21]
	v_add_f64 v[200:201], v[227:228], v[200:201]
	v_add_f64 v[62:63], v[62:63], v[70:71]
	;; [unrolled: 1-line block ×3, first 2 shown]
	v_mul_f64 v[68:69], v[235:236], s[22:23]
	v_mul_f64 v[70:71], v[209:210], s[10:11]
	v_add_f64 v[64:65], v[182:183], v[64:65]
	v_mul_f64 v[182:183], v[152:153], s[24:25]
	v_add_f64 v[62:63], v[62:63], v[74:75]
	;; [unrolled: 2-line block ×3, first 2 shown]
	v_add_f64 v[68:69], v[158:159], v[68:69]
	v_mul_f64 v[158:159], v[114:115], s[24:25]
	v_mul_f64 v[72:73], v[180:181], s[16:17]
	v_add_f64 v[70:71], v[118:119], v[70:71]
	v_mul_f64 v[118:119], v[150:151], s[4:5]
	v_add_f64 v[62:63], v[62:63], v[78:79]
	;; [unrolled: 2-line block ×3, first 2 shown]
	v_mul_f64 v[76:77], v[126:127], s[18:19]
	v_mul_f64 v[60:61], v[156:157], s[4:5]
	v_add_f64 v[72:73], v[231:232], v[72:73]
	v_add_f64 v[118:119], v[118:119], -v[202:203]
	v_add_f64 v[26:27], v[62:63], v[26:27]
	v_mul_f64 v[202:203], v[235:236], s[24:25]
	v_add_f64 v[24:25], v[66:67], v[24:25]
	v_add_f64 v[60:61], v[204:205], v[60:61]
	v_mul_f64 v[204:205], v[235:236], s[18:19]
	v_add_f64 v[18:19], v[26:27], v[18:19]
	v_add_f64 v[16:17], v[24:25], v[16:17]
	;; [unrolled: 1-line block ×3, first 2 shown]
	v_mul_f64 v[204:205], v[156:157], s[2:3]
	v_add_f64 v[18:19], v[18:19], v[22:23]
	v_add_f64 v[16:17], v[16:17], v[20:21]
	v_add_f64 v[18:19], v[18:19], v[30:31]
	v_add_f64 v[16:17], v[16:17], v[28:29]
	v_add_f64 v[18:19], v[18:19], v[34:35]
	v_add_f64 v[16:17], v[16:17], v[32:33]
	s_waitcnt vmcnt(0)
	v_add_f64 v[74:75], v[0:1], v[74:75]
	buffer_load_dword v0, off, s[64:67], 0 offset:360 ; 4-byte Folded Reload
	buffer_load_dword v1, off, s[64:67], 0 offset:364 ; 4-byte Folded Reload
	v_add_f64 v[18:19], v[18:19], v[38:39]
	v_add_f64 v[16:17], v[16:17], v[36:37]
	;; [unrolled: 1-line block ×10, first 2 shown]
	s_waitcnt vmcnt(0)
	v_add_f64 v[76:77], v[0:1], v[76:77]
	buffer_load_dword v0, off, s[64:67], 0 offset:232 ; 4-byte Folded Reload
	buffer_load_dword v1, off, s[64:67], 0 offset:236 ; 4-byte Folded Reload
	s_waitcnt vmcnt(0)
	v_add_f64 v[78:79], v[0:1], v[78:79]
	buffer_load_dword v0, off, s[64:67], 0 offset:456 ; 4-byte Folded Reload
	buffer_load_dword v1, off, s[64:67], 0 offset:460 ; 4-byte Folded Reload
	v_add_f64 v[78:79], v[14:15], v[78:79]
	v_add_f64 v[76:77], v[76:77], v[78:79]
	v_mul_f64 v[78:79], v[120:121], s[20:21]
	v_add_f64 v[74:75], v[74:75], v[76:77]
	v_mul_f64 v[76:77], v[152:153], s[2:3]
	v_add_f64 v[78:79], v[78:79], -v[176:177]
	v_mul_f64 v[176:177], v[124:125], s[18:19]
	v_add_f64 v[72:73], v[72:73], v[74:75]
	v_add_f64 v[70:71], v[70:71], v[72:73]
	v_mul_f64 v[72:73], v[233:234], s[22:23]
	v_add_f64 v[68:69], v[68:69], v[70:71]
	v_add_f64 v[72:73], v[72:73], -v[148:149]
	v_mul_f64 v[148:149], v[126:127], s[24:25]
	v_add_f64 v[64:65], v[64:65], v[68:69]
	v_mul_f64 v[68:69], v[180:181], s[4:5]
	v_add_f64 v[60:61], v[60:61], v[64:65]
	v_add_f64 v[68:69], v[225:226], v[68:69]
	s_waitcnt vmcnt(0)
	v_add_f64 v[76:77], v[76:77], -v[0:1]
	buffer_load_dword v0, off, s[64:67], 0 offset:216 ; 4-byte Folded Reload
	buffer_load_dword v1, off, s[64:67], 0 offset:220 ; 4-byte Folded Reload
	s_waitcnt vmcnt(0)
	v_add_f64 v[158:159], v[158:159], -v[0:1]
	buffer_load_dword v0, off, s[64:67], 0 offset:352 ; 4-byte Folded Reload
	buffer_load_dword v1, off, s[64:67], 0 offset:356 ; 4-byte Folded Reload
	v_add_f64 v[74:75], v[12:13], v[158:159]
	v_mul_f64 v[158:159], v[178:179], s[16:17]
	v_add_f64 v[158:159], v[158:159], -v[229:230]
	s_waitcnt vmcnt(0)
	v_add_f64 v[176:177], v[176:177], -v[0:1]
	buffer_load_dword v0, off, s[64:67], 0 offset:448 ; 4-byte Folded Reload
	buffer_load_dword v1, off, s[64:67], 0 offset:452 ; 4-byte Folded Reload
	v_add_f64 v[74:75], v[176:177], v[74:75]
	v_mul_f64 v[176:177], v[154:155], s[4:5]
	v_add_f64 v[74:75], v[76:77], v[74:75]
	v_mul_f64 v[76:77], v[207:208], s[10:11]
	v_add_f64 v[74:75], v[158:159], v[74:75]
	v_add_f64 v[76:77], v[76:77], -v[112:113]
	v_mul_f64 v[112:113], v[126:127], s[20:21]
	v_mul_f64 v[158:159], v[120:121], s[24:25]
	v_add_f64 v[74:75], v[76:77], v[74:75]
	v_mul_f64 v[76:77], v[154:155], s[22:23]
	v_add_f64 v[158:159], v[158:159], -v[166:167]
	v_mul_f64 v[166:167], v[235:236], s[2:3]
	v_add_f64 v[70:71], v[72:73], v[74:75]
	v_mul_f64 v[72:73], v[116:117], s[18:19]
	v_mul_f64 v[74:75], v[126:127], s[16:17]
	v_add_f64 v[128:129], v[128:129], v[166:167]
	v_mul_f64 v[166:167], v[122:123], s[10:11]
	v_add_f64 v[70:71], v[78:79], v[70:71]
	;; [unrolled: 2-line block ×3, first 2 shown]
	v_mul_f64 v[166:167], v[126:127], s[22:23]
	v_mul_f64 v[126:127], v[126:127], s[10:11]
	s_waitcnt vmcnt(0)
	v_add_f64 v[76:77], v[0:1], v[76:77]
	buffer_load_dword v0, off, s[64:67], 0 offset:160 ; 4-byte Folded Reload
	buffer_load_dword v1, off, s[64:67], 0 offset:164 ; 4-byte Folded Reload
	s_waitcnt vmcnt(0)
	v_add_f64 v[72:73], v[0:1], v[72:73]
	buffer_load_dword v0, off, s[64:67], 0 offset:336 ; 4-byte Folded Reload
	buffer_load_dword v1, off, s[64:67], 0 offset:340 ; 4-byte Folded Reload
	v_add_f64 v[72:73], v[14:15], v[72:73]
	s_waitcnt vmcnt(0)
	v_add_f64 v[74:75], v[0:1], v[74:75]
	buffer_load_dword v0, off, s[64:67], 0 offset:440 ; 4-byte Folded Reload
	buffer_load_dword v1, off, s[64:67], 0 offset:444 ; 4-byte Folded Reload
	v_add_f64 v[72:73], v[74:75], v[72:73]
	v_mul_f64 v[74:75], v[209:210], s[20:21]
	v_add_f64 v[72:73], v[76:77], v[72:73]
	v_add_f64 v[74:75], v[108:109], v[74:75]
	v_mul_f64 v[76:77], v[114:115], s[18:19]
	v_mul_f64 v[108:109], v[116:117], s[10:11]
	v_add_f64 v[68:69], v[68:69], v[72:73]
	v_mul_f64 v[72:73], v[235:236], s[10:11]
	v_add_f64 v[68:69], v[74:75], v[68:69]
	v_add_f64 v[72:73], v[146:147], v[72:73]
	v_mul_f64 v[74:75], v[122:123], s[2:3]
	v_mul_f64 v[146:147], v[116:117], s[4:5]
	v_add_f64 v[68:69], v[72:73], v[68:69]
	v_add_f64 v[74:75], v[172:173], v[74:75]
	v_mul_f64 v[172:173], v[152:153], s[4:5]
	v_mul_f64 v[72:73], v[156:157], s[24:25]
	v_add_f64 v[68:69], v[74:75], v[68:69]
	v_mul_f64 v[74:75], v[152:153], s[22:23]
	v_add_f64 v[72:73], v[198:199], v[72:73]
	;; [unrolled: 2-line block ×3, first 2 shown]
	s_waitcnt vmcnt(0)
	v_add_f64 v[74:75], v[74:75], -v[0:1]
	buffer_load_dword v0, off, s[64:67], 0 offset:144 ; 4-byte Folded Reload
	buffer_load_dword v1, off, s[64:67], 0 offset:148 ; 4-byte Folded Reload
	s_waitcnt vmcnt(0)
	v_add_f64 v[76:77], v[76:77], -v[0:1]
	buffer_load_dword v0, off, s[64:67], 0 offset:328 ; 4-byte Folded Reload
	buffer_load_dword v1, off, s[64:67], 0 offset:332 ; 4-byte Folded Reload
	v_add_f64 v[76:77], v[12:13], v[76:77]
	s_waitcnt vmcnt(0)
	v_add_f64 v[78:79], v[78:79], -v[0:1]
	buffer_load_dword v0, off, s[64:67], 0 offset:424 ; 4-byte Folded Reload
	buffer_load_dword v1, off, s[64:67], 0 offset:428 ; 4-byte Folded Reload
	v_add_f64 v[76:77], v[78:79], v[76:77]
	v_mul_f64 v[78:79], v[178:179], s[4:5]
	v_add_f64 v[74:75], v[74:75], v[76:77]
	v_add_f64 v[78:79], v[78:79], -v[223:224]
	v_mul_f64 v[76:77], v[207:208], s[20:21]
	v_add_f64 v[74:75], v[78:79], v[74:75]
	v_add_f64 v[76:77], v[76:77], -v[251:252]
	;; [unrolled: 3-line block ×3, first 2 shown]
	v_mul_f64 v[76:77], v[120:121], s[2:3]
	v_mul_f64 v[144:145], v[124:125], s[20:21]
	v_add_f64 v[74:75], v[78:79], v[74:75]
	v_add_f64 v[76:77], v[76:77], -v[170:171]
	v_mul_f64 v[170:171], v[207:208], s[22:23]
	v_mul_f64 v[78:79], v[150:151], s[24:25]
	v_add_f64 v[74:75], v[76:77], v[74:75]
	v_mul_f64 v[76:77], v[154:155], s[18:19]
	v_add_f64 v[170:171], v[170:171], -v[237:238]
	v_add_f64 v[78:79], v[78:79], -v[196:197]
	v_mul_f64 v[196:197], v[209:210], s[18:19]
	s_waitcnt vmcnt(0)
	v_add_f64 v[76:77], v[0:1], v[76:77]
	buffer_load_dword v0, off, s[64:67], 0 offset:128 ; 4-byte Folded Reload
	buffer_load_dword v1, off, s[64:67], 0 offset:132 ; 4-byte Folded Reload
	s_waitcnt vmcnt(0)
	v_add_f64 v[108:109], v[0:1], v[108:109]
	buffer_load_dword v0, off, s[64:67], 0 offset:280 ; 4-byte Folded Reload
	buffer_load_dword v1, off, s[64:67], 0 offset:284 ; 4-byte Folded Reload
	v_add_f64 v[108:109], v[14:15], v[108:109]
	s_waitcnt vmcnt(0)
	v_add_f64 v[112:113], v[0:1], v[112:113]
	buffer_load_dword v0, off, s[64:67], 0 offset:400 ; 4-byte Folded Reload
	buffer_load_dword v1, off, s[64:67], 0 offset:404 ; 4-byte Folded Reload
	v_add_f64 v[108:109], v[112:113], v[108:109]
	v_mul_f64 v[112:113], v[180:181], s[2:3]
	v_add_f64 v[76:77], v[76:77], v[108:109]
	v_add_f64 v[112:113], v[221:222], v[112:113]
	v_mul_f64 v[108:109], v[209:210], s[4:5]
	v_add_f64 v[76:77], v[112:113], v[76:77]
	v_add_f64 v[108:109], v[249:250], v[108:109]
	v_mul_f64 v[112:113], v[235:236], s[16:17]
	v_add_f64 v[76:77], v[108:109], v[76:77]
	v_add_f64 v[112:113], v[138:139], v[112:113]
	v_mul_f64 v[108:109], v[122:123], s[24:25]
	v_mul_f64 v[138:139], v[114:115], s[10:11]
	v_add_f64 v[76:77], v[112:113], v[76:77]
	v_add_f64 v[108:109], v[168:169], v[108:109]
	v_mul_f64 v[168:169], v[116:117], s[2:3]
	v_mul_f64 v[116:117], v[116:117], s[22:23]
	;; [unrolled: 1-line block ×3, first 2 shown]
	v_add_f64 v[76:77], v[108:109], v[76:77]
	v_mul_f64 v[108:109], v[233:234], s[16:17]
	v_add_f64 v[112:113], v[192:193], v[112:113]
	v_mul_f64 v[192:193], v[180:181], s[10:11]
	v_add_f64 v[108:109], v[108:109], -v[136:137]
	v_mul_f64 v[136:137], v[152:153], s[18:19]
	v_mul_f64 v[152:153], v[152:153], s[20:21]
	v_add_f64 v[68:69], v[112:113], v[76:77]
	s_waitcnt vmcnt(0)
	v_add_f64 v[136:137], v[136:137], -v[0:1]
	buffer_load_dword v0, off, s[64:67], 0 offset:112 ; 4-byte Folded Reload
	buffer_load_dword v1, off, s[64:67], 0 offset:116 ; 4-byte Folded Reload
	s_waitcnt vmcnt(0)
	v_add_f64 v[138:139], v[138:139], -v[0:1]
	buffer_load_dword v0, off, s[64:67], 0 offset:264 ; 4-byte Folded Reload
	buffer_load_dword v1, off, s[64:67], 0 offset:268 ; 4-byte Folded Reload
	v_add_f64 v[138:139], v[12:13], v[138:139]
	s_waitcnt vmcnt(0)
	v_add_f64 v[144:145], v[144:145], -v[0:1]
	buffer_load_dword v0, off, s[64:67], 0 offset:512 ; 4-byte Folded Reload
	buffer_load_dword v1, off, s[64:67], 0 offset:516 ; 4-byte Folded Reload
	v_add_f64 v[138:139], v[144:145], v[138:139]
	v_mul_f64 v[144:145], v[178:179], s[2:3]
	v_add_f64 v[136:137], v[136:137], v[138:139]
	v_mul_f64 v[138:139], v[207:208], s[4:5]
	v_mul_f64 v[206:207], v[233:234], s[2:3]
	v_add_f64 v[138:139], v[138:139], -v[245:246]
	v_add_f64 v[66:67], v[206:207], -v[253:254]
	s_waitcnt vmcnt(0)
	v_add_f64 v[144:145], v[144:145], -v[0:1]
	buffer_load_dword v0, off, s[64:67], 0 offset:392 ; 4-byte Folded Reload
	buffer_load_dword v1, off, s[64:67], 0 offset:396 ; 4-byte Folded Reload
	v_add_f64 v[136:137], v[144:145], v[136:137]
	v_mul_f64 v[144:145], v[154:155], s[20:21]
	v_mul_f64 v[154:155], v[154:155], s[24:25]
	v_add_f64 v[136:137], v[138:139], v[136:137]
	v_mul_f64 v[138:139], v[114:115], s[2:3]
	v_add_f64 v[108:109], v[108:109], v[136:137]
	v_mul_f64 v[136:137], v[114:115], s[22:23]
	v_mul_f64 v[114:115], v[114:115], s[4:5]
	v_add_f64 v[108:109], v[158:159], v[108:109]
	v_mul_f64 v[158:159], v[178:179], s[18:19]
	s_waitcnt vmcnt(0)
	v_add_f64 v[144:145], v[0:1], v[144:145]
	buffer_load_dword v0, off, s[64:67], 0 offset:96 ; 4-byte Folded Reload
	buffer_load_dword v1, off, s[64:67], 0 offset:100 ; 4-byte Folded Reload
	s_waitcnt vmcnt(0)
	v_add_f64 v[146:147], v[0:1], v[146:147]
	buffer_load_dword v0, off, s[64:67], 0 offset:256 ; 4-byte Folded Reload
	buffer_load_dword v1, off, s[64:67], 0 offset:260 ; 4-byte Folded Reload
	v_add_f64 v[146:147], v[14:15], v[146:147]
	s_waitcnt vmcnt(0)
	v_add_f64 v[148:149], v[0:1], v[148:149]
	buffer_load_dword v0, off, s[64:67], 0 offset:488 ; 4-byte Folded Reload
	buffer_load_dword v1, off, s[64:67], 0 offset:492 ; 4-byte Folded Reload
	v_add_f64 v[146:147], v[148:149], v[146:147]
	v_mul_f64 v[148:149], v[180:181], s[18:19]
	v_mul_f64 v[180:181], v[180:181], s[20:21]
	v_add_f64 v[144:145], v[144:145], v[146:147]
	v_mul_f64 v[146:147], v[209:210], s[22:23]
	v_mul_f64 v[208:209], v[122:123], s[16:17]
	;; [unrolled: 1-line block ×5, first 2 shown]
	v_add_f64 v[146:147], v[239:240], v[146:147]
	v_add_f64 v[62:63], v[188:189], v[156:157]
	s_waitcnt vmcnt(0)
	v_add_f64 v[148:149], v[0:1], v[148:149]
	buffer_load_dword v0, off, s[64:67], 0 offset:480 ; 4-byte Folded Reload
	buffer_load_dword v1, off, s[64:67], 0 offset:484 ; 4-byte Folded Reload
	v_add_f64 v[144:145], v[148:149], v[144:145]
	v_mul_f64 v[148:149], v[150:151], s[22:23]
	v_add_f64 v[144:145], v[146:147], v[144:145]
	v_mul_f64 v[146:147], v[124:125], s[22:23]
	v_add_f64 v[148:149], v[148:149], -v[190:191]
	v_mul_f64 v[190:191], v[178:179], s[10:11]
	v_mul_f64 v[178:179], v[178:179], s[20:21]
	v_add_f64 v[128:129], v[128:129], v[144:145]
	v_mul_f64 v[144:145], v[124:125], s[10:11]
	v_mul_f64 v[124:125], v[124:125], s[24:25]
	v_add_f64 v[112:113], v[160:161], v[128:129]
	s_waitcnt vmcnt(0)
	v_add_f64 v[158:159], v[158:159], -v[0:1]
	buffer_load_dword v0, off, s[64:67], 0 offset:80 ; 4-byte Folded Reload
	buffer_load_dword v1, off, s[64:67], 0 offset:84 ; 4-byte Folded Reload
	s_waitcnt vmcnt(0)
	v_add_f64 v[114:115], v[114:115], -v[0:1]
	buffer_load_dword v0, off, s[64:67], 0 offset:248 ; 4-byte Folded Reload
	buffer_load_dword v1, off, s[64:67], 0 offset:252 ; 4-byte Folded Reload
	v_add_f64 v[114:115], v[12:13], v[114:115]
	s_waitcnt vmcnt(0)
	v_add_f64 v[124:125], v[124:125], -v[0:1]
	buffer_load_dword v0, off, s[64:67], 0 offset:64 ; 4-byte Folded Reload
	buffer_load_dword v1, off, s[64:67], 0 offset:68 ; 4-byte Folded Reload
	v_add_f64 v[114:115], v[124:125], v[114:115]
	v_mul_f64 v[124:125], v[233:234], s[24:25]
	s_waitcnt vmcnt(0)
	v_add_f64 v[116:117], v[0:1], v[116:117]
	buffer_load_dword v0, off, s[64:67], 0 offset:376 ; 4-byte Folded Reload
	buffer_load_dword v1, off, s[64:67], 0 offset:380 ; 4-byte Folded Reload
	v_add_f64 v[116:117], v[14:15], v[116:117]
	s_waitcnt vmcnt(0)
	v_add_f64 v[152:153], v[152:153], -v[0:1]
	buffer_load_dword v0, off, s[64:67], 0 offset:240 ; 4-byte Folded Reload
	buffer_load_dword v1, off, s[64:67], 0 offset:244 ; 4-byte Folded Reload
	v_add_f64 v[114:115], v[152:153], v[114:115]
	v_mul_f64 v[152:153], v[120:121], s[16:17]
	v_add_f64 v[114:115], v[158:159], v[114:115]
	v_mul_f64 v[158:159], v[150:151], s[20:21]
	v_add_f64 v[76:77], v[170:171], v[114:115]
	v_add_f64 v[114:115], v[140:141], v[122:123]
	v_add_f64 v[36:37], v[158:159], -v[162:163]
	v_add_f64 v[26:27], v[66:67], v[76:77]
	v_add_f64 v[66:67], v[184:185], v[204:205]
	s_waitcnt vmcnt(0)
	v_add_f64 v[126:127], v[0:1], v[126:127]
	buffer_load_dword v0, off, s[64:67], 0 offset:368 ; 4-byte Folded Reload
	buffer_load_dword v1, off, s[64:67], 0 offset:372 ; 4-byte Folded Reload
	v_add_f64 v[116:117], v[126:127], v[116:117]
	v_mul_f64 v[126:127], v[233:234], s[18:19]
	s_waitcnt vmcnt(0)
	v_add_f64 v[154:155], v[0:1], v[154:155]
	buffer_load_dword v0, off, s[64:67], 0 offset:472 ; 4-byte Folded Reload
	buffer_load_dword v1, off, s[64:67], 0 offset:476 ; 4-byte Folded Reload
	v_add_f64 v[116:117], v[154:155], v[116:117]
	v_mul_f64 v[154:155], v[120:121], s[4:5]
	v_mul_f64 v[120:121], v[120:121], s[10:11]
	v_add_f64 v[24:25], v[120:121], -v[142:143]
	s_waitcnt vmcnt(0)
	v_add_f64 v[180:181], v[0:1], v[180:181]
	buffer_load_dword v0, off, s[64:67], 0 offset:32 ; 4-byte Folded Reload
	buffer_load_dword v1, off, s[64:67], 0 offset:36 ; 4-byte Folded Reload
	v_add_f64 v[116:117], v[180:181], v[116:117]
	v_mul_f64 v[180:181], v[150:151], s[2:3]
	v_mul_f64 v[150:151], v[150:151], s[16:17]
	v_add_f64 v[72:73], v[200:201], v[116:117]
	v_add_f64 v[72:73], v[110:111], v[72:73]
	v_add_f64 v[110:111], v[150:151], -v[186:187]
	v_add_f64 v[72:73], v[114:115], v[72:73]
	v_add_f64 v[18:19], v[66:67], v[72:73]
	;; [unrolled: 1-line block ×3, first 2 shown]
	s_waitcnt vmcnt(0)
	v_add_f64 v[76:77], v[0:1], v[168:169]
	buffer_load_dword v0, off, s[64:67], 0 offset:16 ; 4-byte Folded Reload
	buffer_load_dword v1, off, s[64:67], 0 offset:20 ; 4-byte Folded Reload
	v_add_f64 v[14:15], v[14:15], v[76:77]
	s_waitcnt vmcnt(0)
	v_add_f64 v[20:21], v[138:139], -v[0:1]
	buffer_load_dword v0, off, s[64:67], 0 offset:48 ; 4-byte Folded Reload
	buffer_load_dword v1, off, s[64:67], 0 offset:52 ; 4-byte Folded Reload
	v_add_f64 v[20:21], v[12:13], v[20:21]
	s_waitcnt vmcnt(0)
	v_add_f64 v[22:23], v[136:137], -v[0:1]
	;; [unrolled: 5-line block ×3, first 2 shown]
	buffer_load_dword v0, off, s[64:67], 0 offset:192 ; 4-byte Folded Reload
	buffer_load_dword v1, off, s[64:67], 0 offset:196 ; 4-byte Folded Reload
	v_add_f64 v[12:13], v[114:115], v[12:13]
	s_waitcnt vmcnt(0)
	v_add_f64 v[116:117], v[0:1], v[166:167]
	buffer_load_dword v0, off, s[64:67], 0 offset:176 ; 4-byte Folded Reload
	buffer_load_dword v1, off, s[64:67], 0 offset:180 ; 4-byte Folded Reload
	v_add_f64 v[14:15], v[116:117], v[14:15]
	s_waitcnt vmcnt(0)
	v_add_f64 v[76:77], v[146:147], -v[0:1]
	buffer_load_dword v0, off, s[64:67], 0 offset:312 ; 4-byte Folded Reload
	buffer_load_dword v1, off, s[64:67], 0 offset:316 ; 4-byte Folded Reload
	v_add_f64 v[20:21], v[76:77], v[20:21]
	s_waitcnt vmcnt(0)
	v_add_f64 v[22:23], v[182:183], -v[0:1]
	buffer_load_dword v0, off, s[64:67], 0 offset:304 ; 4-byte Folded Reload
	buffer_load_dword v1, off, s[64:67], 0 offset:308 ; 4-byte Folded Reload
	v_add_f64 v[12:13], v[22:23], v[12:13]
	s_waitcnt vmcnt(0)
	v_add_f64 v[28:29], v[0:1], v[176:177]
	buffer_load_dword v0, off, s[64:67], 0 offset:288 ; 4-byte Folded Reload
	buffer_load_dword v1, off, s[64:67], 0 offset:292 ; 4-byte Folded Reload
	v_add_f64 v[14:15], v[28:29], v[14:15]
	s_waitcnt vmcnt(0)
	v_add_f64 v[30:31], v[172:173], -v[0:1]
	buffer_load_dword v0, off, s[64:67], 0 offset:432 ; 4-byte Folded Reload
	buffer_load_dword v1, off, s[64:67], 0 offset:436 ; 4-byte Folded Reload
	v_add_f64 v[20:21], v[30:31], v[20:21]
	s_waitcnt vmcnt(0)
	v_add_f64 v[32:33], v[178:179], -v[0:1]
	buffer_load_dword v0, off, s[64:67], 0 offset:416 ; 4-byte Folded Reload
	buffer_load_dword v1, off, s[64:67], 0 offset:420 ; 4-byte Folded Reload
	v_add_f64 v[12:13], v[32:33], v[12:13]
	v_add_f64 v[32:33], v[243:244], v[202:203]
	s_waitcnt vmcnt(0)
	v_add_f64 v[34:35], v[0:1], v[192:193]
	buffer_load_dword v0, off, s[64:67], 0 offset:408 ; 4-byte Folded Reload
	buffer_load_dword v1, off, s[64:67], 0 offset:412 ; 4-byte Folded Reload
	v_add_f64 v[14:15], v[34:35], v[14:15]
	s_waitcnt vmcnt(0)
	v_add_f64 v[28:29], v[190:191], -v[0:1]
	buffer_load_dword v0, off, s[64:67], 0 offset:520 ; 4-byte Folded Reload
	buffer_load_dword v1, off, s[64:67], 0 offset:524 ; 4-byte Folded Reload
	v_add_f64 v[20:21], v[28:29], v[20:21]
	v_add_f64 v[28:29], v[126:127], -v[247:248]
	s_waitcnt vmcnt(0)
	v_add_f64 v[22:23], v[198:199], -v[0:1]
	buffer_load_dword v0, off, s[64:67], 0 offset:504 ; 4-byte Folded Reload
	buffer_load_dword v1, off, s[64:67], 0 offset:508 ; 4-byte Folded Reload
	v_add_f64 v[12:13], v[22:23], v[12:13]
	v_add_f64 v[22:23], v[154:155], -v[134:135]
	v_add_f64 v[12:13], v[28:29], v[12:13]
	v_add_f64 v[28:29], v[180:181], -v[174:175]
	v_add_f64 v[12:13], v[22:23], v[12:13]
	s_waitcnt vmcnt(0)
	v_add_f64 v[30:31], v[0:1], v[196:197]
	buffer_load_dword v0, off, s[64:67], 0 offset:496 ; 4-byte Folded Reload
	buffer_load_dword v1, off, s[64:67], 0 offset:500 ; 4-byte Folded Reload
	v_add_f64 v[14:15], v[30:31], v[14:15]
	v_add_f64 v[30:31], v[124:125], -v[241:242]
	v_add_f64 v[14:15], v[32:33], v[14:15]
	v_add_f64 v[32:33], v[152:153], -v[130:131]
	s_waitcnt vmcnt(0)
	v_add_f64 v[34:35], v[194:195], -v[0:1]
	buffer_load_dword v194, off, s[64:67], 0 offset:8 ; 4-byte Folded Reload
	buffer_load_dword v0, off, s[64:67], 0 offset:12 ; 4-byte Folded Reload
	v_add_f64 v[20:21], v[34:35], v[20:21]
	v_add_f64 v[34:35], v[132:133], v[208:209]
	;; [unrolled: 1-line block ×16, first 2 shown]
	s_waitcnt vmcnt(0)
	v_lshlrev_b32_e32 v0, 4, v0
	ds_write_b128 v0, v[24:27]
	ds_write_b128 v0, v[20:23] offset:16
	ds_write_b128 v0, v[16:19] offset:32
	;; [unrolled: 1-line block ×16, first 2 shown]
.LBB0_7:
	s_or_b64 exec, exec, s[26:27]
	s_waitcnt vmcnt(0) lgkmcnt(0)
	s_barrier
	ds_read_b128 v[60:63], v255
	ds_read_b128 v[112:115], v255 offset:2992
	ds_read_b128 v[108:111], v255 offset:5984
	;; [unrolled: 1-line block ×6, first 2 shown]
	s_movk_i32 s2, 0x44
	v_cmp_gt_u16_e64 s[2:3], s2, v194
	s_and_saveexec_b64 s[4:5], s[2:3]
	s_cbranch_execz .LBB0_9
; %bb.8:
	ds_read_b128 v[88:91], v255 offset:1904
	ds_read_b128 v[100:103], v255 offset:4896
	;; [unrolled: 1-line block ×7, first 2 shown]
.LBB0_9:
	s_or_b64 exec, exec, s[4:5]
	s_movk_i32 s4, 0xf1
	v_mul_lo_u16_sdwa v0, v194, s4 dst_sel:DWORD dst_unused:UNUSED_PAD src0_sel:BYTE_0 src1_sel:DWORD
	v_lshrrev_b16_e32 v116, 12, v0
	v_mul_lo_u16_e32 v0, 17, v116
	v_sub_u16_e32 v0, v194, v0
	v_and_b32_e32 v117, 0xff, v0
	v_mul_u32_u24_e32 v0, 6, v117
	v_lshlrev_b32_e32 v0, 4, v0
	global_load_dwordx4 v[154:157], v0, s[8:9] offset:16
	global_load_dwordx4 v[158:161], v0, s[8:9]
	global_load_dwordx4 v[146:149], v0, s[8:9] offset:48
	global_load_dwordx4 v[150:153], v0, s[8:9] offset:32
	;; [unrolled: 1-line block ×4, first 2 shown]
	v_add_u16_e32 v0, 0x77, v194
	v_mul_lo_u16_sdwa v1, v0, s4 dst_sel:DWORD dst_unused:UNUSED_PAD src0_sel:BYTE_0 src1_sel:DWORD
	v_lshrrev_b16_e32 v50, 12, v1
	v_mul_lo_u16_e32 v1, 17, v50
	v_sub_u16_e32 v0, v0, v1
	v_and_b32_e32 v51, 0xff, v0
	v_mul_u32_u24_e32 v0, 6, v51
	v_lshlrev_b32_e32 v0, 4, v0
	global_load_dwordx4 v[56:59], v0, s[8:9]
	global_load_dwordx4 v[36:39], v0, s[8:9] offset:16
	global_load_dwordx4 v[52:55], v0, s[8:9] offset:32
	;; [unrolled: 1-line block ×5, first 2 shown]
	s_load_dwordx4 s[4:7], s[6:7], 0x0
	s_mov_b32 s16, 0x37e14327
	s_mov_b32 s10, 0x36b3c0b5
	;; [unrolled: 1-line block ×20, first 2 shown]
	v_mul_u32_u24_e32 v0, 0x77, v116
	v_add_lshl_u32 v196, v0, v117, 4
	s_waitcnt vmcnt(11) lgkmcnt(0)
	v_mul_f64 v[16:17], v[110:111], v[156:157]
	s_waitcnt vmcnt(10)
	v_mul_f64 v[12:13], v[114:115], v[160:161]
	s_waitcnt vmcnt(9)
	;; [unrolled: 2-line block ×5, first 2 shown]
	v_mul_f64 v[28:29], v[70:71], v[168:169]
	v_mul_f64 v[14:15], v[112:113], v[160:161]
	;; [unrolled: 1-line block ×4, first 2 shown]
	s_waitcnt vmcnt(5)
	v_mul_f64 v[118:119], v[102:103], v[58:59]
	v_mul_f64 v[26:27], v[72:73], v[148:149]
	;; [unrolled: 1-line block ×5, first 2 shown]
	v_fma_f64 v[12:13], v[112:113], v[158:159], -v[12:13]
	buffer_store_dword v158, off, s[64:67], 0 offset:64 ; 4-byte Folded Spill
	s_nop 0
	buffer_store_dword v159, off, s[64:67], 0 offset:68 ; 4-byte Folded Spill
	buffer_store_dword v160, off, s[64:67], 0 offset:72 ; 4-byte Folded Spill
	buffer_store_dword v161, off, s[64:67], 0 offset:76 ; 4-byte Folded Spill
	v_fma_f64 v[16:17], v[108:109], v[154:155], -v[16:17]
	buffer_store_dword v154, off, s[64:67], 0 offset:48 ; 4-byte Folded Spill
	s_nop 0
	buffer_store_dword v155, off, s[64:67], 0 offset:52 ; 4-byte Folded Spill
	buffer_store_dword v156, off, s[64:67], 0 offset:56 ; 4-byte Folded Spill
	buffer_store_dword v157, off, s[64:67], 0 offset:60 ; 4-byte Folded Spill
	;; [unrolled: 6-line block ×7, first 2 shown]
	s_waitcnt vmcnt(32)
	v_mul_f64 v[122:123], v[106:107], v[38:39]
	s_waitcnt vmcnt(31)
	v_mul_f64 v[126:127], v[98:99], v[54:55]
	s_waitcnt vmcnt(29)
	v_mul_f64 v[134:135], v[86:87], v[144:145]
	s_waitcnt vmcnt(28)
	v_mul_f64 v[138:139], v[82:83], v[42:43]
	v_add_f64 v[64:65], v[12:13], v[32:33]
	v_add_f64 v[12:13], v[12:13], -v[32:33]
	v_add_f64 v[32:33], v[16:17], v[28:29]
	v_add_f64 v[16:17], v[16:17], -v[28:29]
	;; [unrolled: 2-line block ×3, first 2 shown]
	v_mul_f64 v[124:125], v[104:105], v[38:39]
	v_mul_f64 v[128:129], v[96:97], v[54:55]
	;; [unrolled: 1-line block ×4, first 2 shown]
	v_add_f64 v[24:25], v[32:33], v[64:65]
	v_add_f64 v[68:69], v[32:33], -v[64:65]
	v_add_f64 v[64:65], v[64:65], -v[28:29]
	;; [unrolled: 1-line block ×3, first 2 shown]
	v_add_f64 v[72:73], v[20:21], v[16:17]
	v_add_f64 v[76:77], v[20:21], -v[16:17]
	v_add_f64 v[16:17], v[16:17], -v[12:13]
	;; [unrolled: 1-line block ×3, first 2 shown]
	v_add_f64 v[24:25], v[28:29], v[24:25]
	v_fma_f64 v[104:105], v[104:105], v[36:37], -v[122:123]
	v_mul_f64 v[28:29], v[64:65], s[16:17]
	buffer_store_dword v36, off, s[64:67], 0 offset:144 ; 4-byte Folded Spill
	s_nop 0
	buffer_store_dword v37, off, s[64:67], 0 offset:148 ; 4-byte Folded Spill
	buffer_store_dword v38, off, s[64:67], 0 offset:152 ; 4-byte Folded Spill
	;; [unrolled: 1-line block ×3, first 2 shown]
	v_add_f64 v[12:13], v[72:73], v[12:13]
	v_mul_f64 v[72:73], v[32:33], s[10:11]
	v_mul_f64 v[76:77], v[76:77], s[20:21]
	v_fma_f64 v[96:97], v[96:97], v[52:53], -v[126:127]
	v_add_f64 v[64:65], v[60:61], v[24:25]
	v_mul_f64 v[60:61], v[16:17], s[18:19]
	v_fma_f64 v[32:33], v[32:33], s[10:11], v[28:29]
	v_fma_f64 v[28:29], v[68:69], s[26:27], -v[28:29]
	buffer_store_dword v52, off, s[64:67], 0 offset:216 ; 4-byte Folded Spill
	s_nop 0
	buffer_store_dword v53, off, s[64:67], 0 offset:220 ; 4-byte Folded Spill
	buffer_store_dword v54, off, s[64:67], 0 offset:224 ; 4-byte Folded Spill
	;; [unrolled: 1-line block ×3, first 2 shown]
	v_fma_f64 v[72:73], v[68:69], s[24:25], -v[72:73]
	v_fma_f64 v[68:69], v[20:21], s[28:29], v[76:77]
	v_fma_f64 v[16:17], v[16:17], s[18:19], -v[76:77]
	v_fma_f64 v[108:109], v[84:85], v[142:143], -v[134:135]
	;; [unrolled: 1-line block ×3, first 2 shown]
	buffer_store_dword v142, off, s[64:67], 0 offset:176 ; 4-byte Folded Spill
	s_nop 0
	buffer_store_dword v143, off, s[64:67], 0 offset:180 ; 4-byte Folded Spill
	buffer_store_dword v144, off, s[64:67], 0 offset:184 ; 4-byte Folded Spill
	;; [unrolled: 1-line block ×3, first 2 shown]
	v_fma_f64 v[24:25], v[24:25], s[22:23], v[64:65]
	v_mul_f64 v[130:131], v[94:95], v[46:47]
	v_mul_f64 v[132:133], v[92:93], v[46:47]
	v_fma_f64 v[20:21], v[12:13], s[30:31], v[20:21]
	v_add_f64 v[112:113], v[32:33], v[24:25]
	v_add_f64 v[32:33], v[72:73], v[24:25]
	;; [unrolled: 1-line block ×3, first 2 shown]
	v_fma_f64 v[92:93], v[92:93], v[44:45], -v[130:131]
	v_fma_f64 v[94:95], v[94:95], v[44:45], v[132:133]
	v_add_f64 v[28:29], v[96:97], v[92:93]
	v_fma_f64 v[14:15], v[114:115], v[158:159], v[14:15]
	v_fma_f64 v[18:19], v[110:111], v[154:155], v[18:19]
	;; [unrolled: 1-line block ×9, first 2 shown]
	v_fma_f64 v[16:17], v[80:81], v[40:41], -v[138:139]
	buffer_store_dword v40, off, s[64:67], 0 offset:160 ; 4-byte Folded Spill
	s_nop 0
	buffer_store_dword v41, off, s[64:67], 0 offset:164 ; 4-byte Folded Spill
	buffer_store_dword v42, off, s[64:67], 0 offset:168 ; 4-byte Folded Spill
	;; [unrolled: 1-line block ×3, first 2 shown]
	v_add_f64 v[66:67], v[14:15], v[34:35]
	v_add_f64 v[14:15], v[14:15], -v[34:35]
	v_add_f64 v[34:35], v[18:19], v[30:31]
	v_add_f64 v[18:19], v[18:19], -v[30:31]
	;; [unrolled: 2-line block ×3, first 2 shown]
	s_waitcnt vmcnt(0)
	s_barrier
	v_add_f64 v[26:27], v[34:35], v[66:67]
	v_add_f64 v[70:71], v[34:35], -v[66:67]
	v_add_f64 v[66:67], v[66:67], -v[30:31]
	;; [unrolled: 1-line block ×3, first 2 shown]
	v_add_f64 v[74:75], v[22:23], v[18:19]
	v_add_f64 v[78:79], v[22:23], -v[18:19]
	v_add_f64 v[18:19], v[18:19], -v[14:15]
	;; [unrolled: 1-line block ×3, first 2 shown]
	v_add_f64 v[26:27], v[30:31], v[26:27]
	v_mul_f64 v[30:31], v[66:67], s[16:17]
	v_fma_f64 v[106:107], v[106:107], v[36:37], v[124:125]
	v_add_f64 v[14:15], v[74:75], v[14:15]
	v_mul_f64 v[74:75], v[34:35], s[10:11]
	v_mul_f64 v[78:79], v[78:79], s[20:21]
	v_add_f64 v[66:67], v[62:63], v[26:27]
	v_mul_f64 v[62:63], v[18:19], s[18:19]
	v_fma_f64 v[34:35], v[34:35], s[10:11], v[30:31]
	v_fma_f64 v[30:31], v[70:71], s[26:27], -v[30:31]
	v_fma_f64 v[98:99], v[98:99], v[52:53], v[128:129]
	v_fma_f64 v[74:75], v[70:71], s[24:25], -v[74:75]
	;; [unrolled: 2-line block ×4, first 2 shown]
	v_fma_f64 v[110:111], v[86:87], v[142:143], v[136:137]
	v_fma_f64 v[118:119], v[14:15], s[30:31], v[70:71]
	v_add_f64 v[114:115], v[34:35], v[26:27]
	v_add_f64 v[34:35], v[74:75], v[26:27]
	;; [unrolled: 1-line block ×3, first 2 shown]
	v_fma_f64 v[22:23], v[14:15], s[30:31], v[22:23]
	v_fma_f64 v[14:15], v[14:15], s[30:31], v[18:19]
	v_add_f64 v[30:31], v[98:99], v[94:95]
	v_add_f64 v[68:69], v[118:119], v[112:113]
	v_add_f64 v[70:71], v[114:115], -v[120:121]
	v_add_f64 v[78:79], v[12:13], v[34:35]
	v_add_f64 v[74:75], v[26:27], -v[20:21]
	;; [unrolled: 2-line block ×4, first 2 shown]
	v_add_f64 v[86:87], v[20:21], v[26:27]
	v_add_f64 v[20:21], v[104:105], v[108:109]
	;; [unrolled: 1-line block ×3, first 2 shown]
	v_add_f64 v[24:25], v[104:105], -v[108:109]
	v_add_f64 v[26:27], v[106:107], -v[110:111]
	;; [unrolled: 1-line block ×3, first 2 shown]
	v_add_f64 v[96:97], v[32:33], v[24:25]
	v_fma_f64 v[18:19], v[82:83], v[40:41], v[140:141]
	v_add_f64 v[82:83], v[34:35], -v[12:13]
	v_add_f64 v[12:13], v[100:101], v[16:17]
	v_add_f64 v[16:17], v[100:101], -v[16:17]
	v_add_f64 v[34:35], v[94:95], -v[98:99]
	v_add_f64 v[100:101], v[32:33], -v[24:25]
	v_add_f64 v[14:15], v[102:103], v[18:19]
	v_add_f64 v[18:19], v[102:103], -v[18:19]
	v_add_f64 v[60:61], v[20:21], v[12:13]
	v_add_f64 v[92:93], v[20:21], -v[12:13]
	v_add_f64 v[12:13], v[12:13], -v[28:29]
	v_add_f64 v[20:21], v[28:29], -v[20:21]
	v_add_f64 v[98:99], v[34:35], v[26:27]
	v_add_f64 v[102:103], v[34:35], -v[26:27]
	v_add_f64 v[62:63], v[22:23], v[14:15]
	v_add_f64 v[94:95], v[22:23], -v[14:15]
	v_add_f64 v[14:15], v[14:15], -v[30:31]
	v_add_f64 v[22:23], v[30:31], -v[22:23]
	v_add_f64 v[28:29], v[28:29], v[60:61]
	v_add_f64 v[24:25], v[24:25], -v[16:17]
	v_add_f64 v[26:27], v[26:27], -v[18:19]
	;; [unrolled: 1-line block ×3, first 2 shown]
	v_add_f64 v[30:31], v[30:31], v[62:63]
	v_add_f64 v[34:35], v[18:19], -v[34:35]
	v_add_f64 v[96:97], v[96:97], v[16:17]
	v_add_f64 v[98:99], v[98:99], v[18:19]
	;; [unrolled: 1-line block ×3, first 2 shown]
	v_mul_f64 v[12:13], v[12:13], s[16:17]
	v_mul_f64 v[14:15], v[14:15], s[16:17]
	;; [unrolled: 1-line block ×3, first 2 shown]
	v_add_f64 v[62:63], v[90:91], v[30:31]
	v_mul_f64 v[18:19], v[22:23], s[10:11]
	v_mul_f64 v[88:89], v[100:101], s[20:21]
	v_mul_f64 v[90:91], v[102:103], s[20:21]
	v_mul_f64 v[100:101], v[24:25], s[18:19]
	v_mul_f64 v[102:103], v[26:27], s[18:19]
	v_fma_f64 v[104:105], v[28:29], s[22:23], v[60:61]
	v_fma_f64 v[20:21], v[20:21], s[10:11], v[12:13]
	;; [unrolled: 1-line block ×4, first 2 shown]
	v_fma_f64 v[16:17], v[92:93], s[24:25], -v[16:17]
	v_fma_f64 v[28:29], v[94:95], s[24:25], -v[18:19]
	v_fma_f64 v[92:93], v[92:93], s[26:27], -v[12:13]
	v_fma_f64 v[94:95], v[94:95], s[26:27], -v[14:15]
	v_fma_f64 v[106:107], v[32:33], s[28:29], v[88:89]
	v_fma_f64 v[108:109], v[34:35], s[28:29], v[90:91]
	v_fma_f64 v[88:89], v[24:25], s[18:19], -v[88:89]
	v_fma_f64 v[26:27], v[26:27], s[18:19], -v[90:91]
	;; [unrolled: 1-line block ×4, first 2 shown]
	v_add_f64 v[12:13], v[20:21], v[104:105]
	v_add_f64 v[18:19], v[22:23], v[30:31]
	;; [unrolled: 1-line block ×6, first 2 shown]
	v_fma_f64 v[20:21], v[98:99], s[30:31], v[26:27]
	v_fma_f64 v[34:35], v[96:97], s[30:31], v[88:89]
	;; [unrolled: 1-line block ×6, first 2 shown]
	v_add_f64 v[88:89], v[112:113], -v[118:119]
	v_add_f64 v[90:91], v[120:121], v[114:115]
	v_add_f64 v[98:99], v[20:21], v[14:15]
	v_add_f64 v[100:101], v[28:29], -v[34:35]
	v_add_f64 v[102:103], v[16:17], -v[22:23]
	v_add_f64 v[104:105], v[32:33], v[24:25]
	v_add_f64 v[106:107], v[12:13], -v[26:27]
	v_add_f64 v[108:109], v[30:31], v[18:19]
	ds_write_b128 v196, v[64:67]
	ds_write_b128 v196, v[68:71] offset:272
	ds_write_b128 v196, v[72:75] offset:544
	;; [unrolled: 1-line block ×6, first 2 shown]
	s_mov_b64 s[10:11], exec
	v_mov_b32_e32 v36, v217
	s_and_b64 s[16:17], s[10:11], s[2:3]
	v_mov_b32_e32 v37, v218
	v_mov_b32_e32 v38, v219
	;; [unrolled: 1-line block ×3, first 2 shown]
	s_mov_b64 exec, s[16:17]
	s_cbranch_execz .LBB0_11
; %bb.10:
	v_add_f64 v[24:25], v[24:25], -v[32:33]
	v_add_f64 v[32:33], v[18:19], -v[30:31]
	v_add_f64 v[30:31], v[26:27], v[12:13]
	v_add_f64 v[22:23], v[22:23], v[16:17]
	v_add_f64 v[28:29], v[34:35], v[28:29]
	v_add_f64 v[26:27], v[14:15], -v[20:21]
	v_mul_u32_u24_e32 v0, 0x77, v50
	v_add_lshl_u32 v0, v0, v51, 4
	ds_write_b128 v0, v[60:63]
	ds_write_b128 v0, v[30:33] offset:272
	ds_write_b128 v0, v[22:25] offset:544
	;; [unrolled: 1-line block ×6, first 2 shown]
.LBB0_11:
	s_or_b64 exec, exec, s[10:11]
	v_mov_b32_e32 v13, s9
	s_movk_i32 s10, 0xa0
	v_mov_b32_e32 v12, s8
	v_mad_u64_u32 v[12:13], s[8:9], v194, s10, v[12:13]
	s_waitcnt lgkmcnt(0)
	s_barrier
	global_load_dwordx4 v[40:43], v[12:13], off offset:1632
	global_load_dwordx4 v[94:97], v[12:13], off offset:1648
	;; [unrolled: 1-line block ×10, first 2 shown]
	ds_read_b128 v[12:15], v255
	ds_read_b128 v[16:19], v255 offset:1904
	ds_read_b128 v[20:23], v255 offset:3808
	;; [unrolled: 1-line block ×10, first 2 shown]
	s_mov_b32 s28, 0xf8bb580b
	s_mov_b32 s29, 0xbfe14ced
	;; [unrolled: 1-line block ×26, first 2 shown]
	s_waitcnt vmcnt(9) lgkmcnt(9)
	v_mul_f64 v[132:133], v[18:19], v[42:43]
	v_mul_f64 v[134:135], v[16:17], v[42:43]
	s_waitcnt vmcnt(8) lgkmcnt(8)
	v_mul_f64 v[136:137], v[22:23], v[96:97]
	v_mul_f64 v[138:139], v[20:21], v[96:97]
	;; [unrolled: 3-line block ×4, first 2 shown]
	v_fma_f64 v[16:17], v[16:17], v[40:41], -v[132:133]
	buffer_store_dword v40, off, s[64:67], 0 offset:128 ; 4-byte Folded Spill
	s_nop 0
	buffer_store_dword v41, off, s[64:67], 0 offset:132 ; 4-byte Folded Spill
	buffer_store_dword v42, off, s[64:67], 0 offset:136 ; 4-byte Folded Spill
	buffer_store_dword v43, off, s[64:67], 0 offset:140 ; 4-byte Folded Spill
	s_waitcnt vmcnt(5) lgkmcnt(1)
	v_mul_f64 v[164:165], v[126:127], v[88:89]
	v_mul_f64 v[166:167], v[124:125], v[88:89]
	v_fma_f64 v[32:33], v[32:33], v[0:1], -v[148:149]
	buffer_store_dword v0, off, s[64:67], 0 offset:112 ; 4-byte Folded Spill
	s_nop 0
	buffer_store_dword v1, off, s[64:67], 0 offset:116 ; 4-byte Folded Spill
	buffer_store_dword v2, off, s[64:67], 0 offset:120 ; 4-byte Folded Spill
	;; [unrolled: 1-line block ×3, first 2 shown]
	s_waitcnt vmcnt(8) lgkmcnt(0)
	v_mul_f64 v[168:169], v[130:131], v[92:93]
	v_mul_f64 v[170:171], v[128:129], v[92:93]
	;; [unrolled: 1-line block ×6, first 2 shown]
	v_fma_f64 v[20:21], v[20:21], v[94:95], -v[136:137]
	v_fma_f64 v[22:23], v[22:23], v[94:95], v[138:139]
	v_fma_f64 v[132:133], v[112:113], v[82:83], -v[152:153]
	v_fma_f64 v[112:113], v[128:129], v[90:91], -v[168:169]
	;; [unrolled: 1-line block ×3, first 2 shown]
	v_fma_f64 v[126:127], v[126:127], v[86:87], v[166:167]
	v_add_f64 v[128:129], v[12:13], v[16:17]
	v_fma_f64 v[24:25], v[24:25], v[56:57], -v[140:141]
	v_fma_f64 v[26:27], v[26:27], v[56:57], v[142:143]
	v_fma_f64 v[28:29], v[28:29], v[70:71], -v[144:145]
	v_fma_f64 v[30:31], v[30:31], v[70:71], v[146:147]
	v_mul_f64 v[156:157], v[118:119], v[80:81]
	v_add_f64 v[140:141], v[20:21], v[124:125]
	v_add_f64 v[142:143], v[22:23], v[126:127]
	v_add_f64 v[144:145], v[20:21], -v[124:125]
	v_add_f64 v[146:147], v[22:23], -v[126:127]
	v_add_f64 v[20:21], v[128:129], v[20:21]
	v_mul_f64 v[158:159], v[116:117], v[80:81]
	v_add_f64 v[136:137], v[16:17], v[112:113]
	v_add_f64 v[16:17], v[16:17], -v[112:113]
	v_mul_f64 v[160:161], v[122:123], v[68:69]
	v_mul_f64 v[162:163], v[120:121], v[68:69]
	v_fma_f64 v[116:117], v[116:117], v[78:79], -v[156:157]
	v_mul_f64 v[164:165], v[146:147], s[24:25]
	v_add_f64 v[20:21], v[20:21], v[24:25]
	v_fma_f64 v[118:119], v[118:119], v[78:79], v[158:159]
	v_mul_f64 v[166:167], v[144:145], s[24:25]
	v_mul_f64 v[158:159], v[16:17], s[24:25]
	v_fma_f64 v[120:121], v[120:121], v[66:67], -v[160:161]
	v_fma_f64 v[122:123], v[122:123], v[66:67], v[162:163]
	v_mul_f64 v[162:163], v[144:145], s[18:19]
	v_mul_f64 v[160:161], v[146:147], s[18:19]
	v_add_f64 v[20:21], v[20:21], v[28:29]
	v_fma_f64 v[188:189], v[140:141], s[22:23], -v[164:165]
	v_add_f64 v[20:21], v[20:21], v[32:33]
	v_add_f64 v[20:21], v[20:21], v[132:133]
	;; [unrolled: 1-line block ×4, first 2 shown]
	v_fma_f64 v[18:19], v[18:19], v[40:41], v[134:135]
	v_fma_f64 v[134:135], v[114:115], v[82:83], v[154:155]
	;; [unrolled: 1-line block ×3, first 2 shown]
	v_mul_f64 v[154:155], v[16:17], s[16:17]
	v_fma_f64 v[34:35], v[34:35], v[0:1], v[150:151]
	v_mul_f64 v[150:151], v[16:17], s[18:19]
	v_add_f64 v[20:21], v[20:21], v[124:125]
	v_add_f64 v[130:131], v[14:15], v[18:19]
	;; [unrolled: 1-line block ×3, first 2 shown]
	v_add_f64 v[18:19], v[18:19], -v[114:115]
	v_add_f64 v[112:113], v[20:21], v[112:113]
	v_add_f64 v[22:23], v[130:131], v[22:23]
	v_mul_f64 v[130:131], v[16:17], s[28:29]
	v_mul_f64 v[16:17], v[16:17], s[30:31]
	v_mul_f64 v[128:129], v[18:19], s[28:29]
	v_mul_f64 v[148:149], v[18:19], s[18:19]
	v_mul_f64 v[152:153], v[18:19], s[16:17]
	v_mul_f64 v[156:157], v[18:19], s[24:25]
	v_mul_f64 v[18:19], v[18:19], s[30:31]
	v_add_f64 v[22:23], v[22:23], v[26:27]
	v_fma_f64 v[170:171], v[138:139], s[20:21], v[130:131]
	v_fma_f64 v[130:131], v[138:139], s[20:21], -v[130:131]
	v_fma_f64 v[168:169], v[136:137], s[20:21], -v[128:129]
	v_fma_f64 v[128:129], v[136:137], s[20:21], v[128:129]
	v_fma_f64 v[172:173], v[136:137], s[8:9], -v[148:149]
	v_fma_f64 v[174:175], v[138:139], s[8:9], v[150:151]
	v_fma_f64 v[148:149], v[136:137], s[8:9], v[148:149]
	v_add_f64 v[22:23], v[22:23], v[30:31]
	v_fma_f64 v[150:151], v[138:139], s[8:9], -v[150:151]
	v_fma_f64 v[176:177], v[136:137], s[10:11], -v[152:153]
	v_fma_f64 v[178:179], v[138:139], s[10:11], v[154:155]
	v_fma_f64 v[152:153], v[136:137], s[10:11], v[152:153]
	v_fma_f64 v[154:155], v[138:139], s[10:11], -v[154:155]
	v_fma_f64 v[180:181], v[136:137], s[22:23], -v[156:157]
	v_fma_f64 v[182:183], v[138:139], s[22:23], v[158:159]
	v_add_f64 v[22:23], v[22:23], v[34:35]
	v_fma_f64 v[156:157], v[136:137], s[22:23], v[156:157]
	v_fma_f64 v[158:159], v[138:139], s[22:23], -v[158:159]
	v_fma_f64 v[184:185], v[136:137], s[26:27], -v[18:19]
	v_fma_f64 v[186:187], v[138:139], s[26:27], v[16:17]
	v_fma_f64 v[18:19], v[136:137], s[26:27], v[18:19]
	v_fma_f64 v[16:17], v[138:139], s[26:27], -v[16:17]
	v_fma_f64 v[138:139], v[142:143], s[8:9], v[162:163]
	v_add_f64 v[22:23], v[22:23], v[134:135]
	v_add_f64 v[170:171], v[14:15], v[170:171]
	v_fma_f64 v[136:137], v[140:141], s[8:9], -v[160:161]
	v_fma_f64 v[160:161], v[140:141], s[8:9], v[160:161]
	v_add_f64 v[168:169], v[12:13], v[168:169]
	v_add_f64 v[128:129], v[12:13], v[128:129]
	v_add_f64 v[172:173], v[12:13], v[172:173]
	v_add_f64 v[148:149], v[12:13], v[148:149]
	v_add_f64 v[22:23], v[22:23], v[118:119]
	v_add_f64 v[176:177], v[12:13], v[176:177]
	v_add_f64 v[152:153], v[12:13], v[152:153]
	v_add_f64 v[180:181], v[12:13], v[180:181]
	v_fma_f64 v[162:163], v[142:143], s[8:9], -v[162:163]
	v_add_f64 v[130:131], v[14:15], v[130:131]
	v_add_f64 v[174:175], v[14:15], v[174:175]
	;; [unrolled: 1-line block ×10, first 2 shown]
	v_mul_f64 v[172:173], v[144:145], s[36:37]
	v_add_f64 v[22:23], v[22:23], v[126:127]
	v_add_f64 v[126:127], v[12:13], v[156:157]
	;; [unrolled: 1-line block ×6, first 2 shown]
	v_mul_f64 v[138:139], v[144:145], s[38:39]
	v_add_f64 v[14:15], v[14:15], v[16:17]
	v_add_f64 v[16:17], v[136:137], v[168:169]
	;; [unrolled: 1-line block ×4, first 2 shown]
	v_mul_f64 v[136:137], v[146:147], s[38:39]
	v_mul_f64 v[160:161], v[146:147], s[36:37]
	v_fma_f64 v[162:163], v[140:141], s[22:23], v[164:165]
	v_fma_f64 v[168:169], v[142:143], s[26:27], v[138:139]
	v_fma_f64 v[138:139], v[142:143], s[26:27], -v[138:139]
	v_fma_f64 v[164:165], v[142:143], s[22:23], -v[166:167]
	v_fma_f64 v[130:131], v[142:143], s[22:23], v[166:167]
	v_mul_f64 v[146:147], v[146:147], s[34:35]
	v_fma_f64 v[166:167], v[140:141], s[26:27], -v[136:137]
	v_fma_f64 v[136:137], v[140:141], s[26:27], v[136:137]
	v_fma_f64 v[170:171], v[140:141], s[10:11], -v[160:161]
	v_fma_f64 v[160:161], v[140:141], s[10:11], v[160:161]
	v_add_f64 v[138:139], v[138:139], v[154:155]
	v_fma_f64 v[154:155], v[142:143], s[10:11], v[172:173]
	v_add_f64 v[150:151], v[164:165], v[150:151]
	v_add_f64 v[164:165], v[168:169], v[178:179]
	v_mul_f64 v[144:145], v[144:145], s[34:35]
	v_fma_f64 v[168:169], v[142:143], s[10:11], -v[172:173]
	v_add_f64 v[148:149], v[162:163], v[148:149]
	v_add_f64 v[162:163], v[166:167], v[176:177]
	;; [unrolled: 1-line block ×4, first 2 shown]
	v_add_f64 v[154:155], v[24:25], -v[120:121]
	v_add_f64 v[152:153], v[170:171], v[180:181]
	v_add_f64 v[166:167], v[26:27], -v[122:123]
	v_add_f64 v[126:127], v[160:161], v[126:127]
	v_fma_f64 v[160:161], v[140:141], s[20:21], -v[146:147]
	v_fma_f64 v[170:171], v[142:143], s[20:21], v[144:145]
	v_add_f64 v[156:157], v[168:169], v[156:157]
	v_add_f64 v[26:27], v[26:27], v[122:123]
	v_mul_f64 v[122:123], v[154:155], s[16:17]
	v_fma_f64 v[142:143], v[142:143], s[20:21], -v[144:145]
	v_mul_f64 v[168:169], v[154:155], s[38:39]
	v_add_f64 v[130:131], v[130:131], v[174:175]
	v_add_f64 v[24:25], v[24:25], v[120:121]
	v_mul_f64 v[120:121], v[166:167], s[16:17]
	v_fma_f64 v[140:141], v[140:141], s[20:21], v[146:147]
	v_add_f64 v[146:147], v[160:161], v[158:159]
	v_add_f64 v[158:159], v[170:171], v[182:183]
	v_mul_f64 v[160:161], v[166:167], s[38:39]
	v_fma_f64 v[170:171], v[26:27], s[10:11], v[122:123]
	v_add_f64 v[14:15], v[142:143], v[14:15]
	v_fma_f64 v[122:123], v[26:27], s[10:11], -v[122:123]
	v_fma_f64 v[142:143], v[26:27], s[26:27], v[168:169]
	v_fma_f64 v[144:145], v[24:25], s[10:11], -v[120:121]
	v_add_f64 v[12:13], v[140:141], v[12:13]
	v_fma_f64 v[120:121], v[24:25], s[10:11], v[120:121]
	v_fma_f64 v[140:141], v[24:25], s[26:27], -v[160:161]
	s_mov_b32 s19, 0x3fed1bb4
	v_add_f64 v[18:19], v[170:171], v[18:19]
	v_add_f64 v[22:23], v[122:123], v[22:23]
	;; [unrolled: 1-line block ×3, first 2 shown]
	v_fma_f64 v[130:131], v[26:27], s[26:27], -v[168:169]
	v_mul_f64 v[168:169], v[154:155], s[28:29]
	v_add_f64 v[16:17], v[144:145], v[16:17]
	v_mul_f64 v[144:145], v[166:167], s[18:19]
	v_add_f64 v[20:21], v[120:121], v[20:21]
	v_add_f64 v[120:121], v[140:141], v[128:129]
	v_fma_f64 v[128:129], v[24:25], s[26:27], v[160:161]
	v_mul_f64 v[160:161], v[166:167], s[28:29]
	v_add_f64 v[130:131], v[130:131], v[150:151]
	v_fma_f64 v[150:151], v[26:27], s[20:21], v[168:169]
	v_mul_f64 v[170:171], v[154:155], s[18:19]
	v_fma_f64 v[140:141], v[24:25], s[8:9], -v[144:145]
	v_fma_f64 v[144:145], v[24:25], s[8:9], v[144:145]
	v_mul_f64 v[154:155], v[154:155], s[24:25]
	v_add_f64 v[128:129], v[128:129], v[148:149]
	v_fma_f64 v[148:149], v[24:25], s[20:21], -v[160:161]
	v_fma_f64 v[160:161], v[24:25], s[20:21], v[160:161]
	v_add_f64 v[124:125], v[150:151], v[124:125]
	v_add_f64 v[150:151], v[30:31], -v[118:119]
	v_fma_f64 v[142:143], v[26:27], s[8:9], v[170:171]
	v_add_f64 v[136:137], v[144:145], v[136:137]
	v_mul_f64 v[144:145], v[166:167], s[24:25]
	v_fma_f64 v[170:171], v[26:27], s[8:9], -v[170:171]
	v_add_f64 v[148:149], v[148:149], v[152:153]
	v_add_f64 v[152:153], v[28:29], -v[116:117]
	v_add_f64 v[28:29], v[28:29], v[116:117]
	v_mul_f64 v[116:117], v[150:151], s[24:25]
	v_add_f64 v[140:141], v[140:141], v[162:163]
	v_add_f64 v[142:143], v[142:143], v[164:165]
	v_fma_f64 v[162:163], v[26:27], s[20:21], -v[168:169]
	v_fma_f64 v[164:165], v[24:25], s[22:23], -v[144:145]
	v_fma_f64 v[166:167], v[26:27], s[22:23], v[154:155]
	v_add_f64 v[126:127], v[160:161], v[126:127]
	v_add_f64 v[30:31], v[30:31], v[118:119]
	v_mul_f64 v[118:119], v[152:153], s[24:25]
	v_fma_f64 v[24:25], v[24:25], s[22:23], v[144:145]
	v_fma_f64 v[26:27], v[26:27], s[22:23], -v[154:155]
	v_mul_f64 v[144:145], v[150:151], s[36:37]
	v_mul_f64 v[154:155], v[152:153], s[36:37]
	v_fma_f64 v[160:161], v[28:29], s[22:23], -v[116:117]
	v_fma_f64 v[116:117], v[28:29], s[22:23], v[116:117]
	v_add_f64 v[156:157], v[162:163], v[156:157]
	v_fma_f64 v[162:163], v[30:31], s[22:23], v[118:119]
	v_fma_f64 v[118:119], v[30:31], s[22:23], -v[118:119]
	v_add_f64 v[12:13], v[24:25], v[12:13]
	v_add_f64 v[14:15], v[26:27], v[14:15]
	v_fma_f64 v[24:25], v[28:29], s[10:11], -v[144:145]
	v_fma_f64 v[26:27], v[30:31], s[10:11], v[154:155]
	v_add_f64 v[20:21], v[116:117], v[20:21]
	v_mul_f64 v[116:117], v[150:151], s[28:29]
	v_add_f64 v[16:17], v[160:161], v[16:17]
	v_add_f64 v[22:23], v[118:119], v[22:23]
	v_mul_f64 v[118:119], v[152:153], s[28:29]
	v_fma_f64 v[154:155], v[30:31], s[10:11], -v[154:155]
	v_add_f64 v[24:25], v[24:25], v[120:121]
	v_add_f64 v[26:27], v[26:27], v[122:123]
	v_mul_f64 v[120:121], v[150:151], s[30:31]
	v_mul_f64 v[122:123], v[152:153], s[30:31]
	v_fma_f64 v[160:161], v[28:29], s[20:21], -v[116:117]
	v_add_f64 v[138:139], v[170:171], v[138:139]
	v_add_f64 v[146:147], v[164:165], v[146:147]
	v_add_f64 v[158:159], v[166:167], v[158:159]
	v_add_f64 v[18:19], v[162:163], v[18:19]
	v_fma_f64 v[144:145], v[28:29], s[10:11], v[144:145]
	v_fma_f64 v[162:163], v[30:31], s[20:21], v[118:119]
	;; [unrolled: 1-line block ×3, first 2 shown]
	v_fma_f64 v[118:119], v[30:31], s[20:21], -v[118:119]
	v_fma_f64 v[164:165], v[28:29], s[26:27], -v[120:121]
	v_fma_f64 v[166:167], v[30:31], s[26:27], v[122:123]
	v_add_f64 v[130:131], v[154:155], v[130:131]
	v_add_f64 v[140:141], v[160:161], v[140:141]
	v_add_f64 v[154:155], v[34:35], -v[134:135]
	v_add_f64 v[160:161], v[32:33], -v[132:133]
	v_add_f64 v[128:129], v[144:145], v[128:129]
	v_add_f64 v[136:137], v[116:117], v[136:137]
	;; [unrolled: 1-line block ×5, first 2 shown]
	v_mul_f64 v[116:117], v[150:151], s[18:19]
	v_mul_f64 v[118:119], v[152:153], s[18:19]
	v_add_f64 v[32:33], v[32:33], v[132:133]
	v_add_f64 v[34:35], v[34:35], v[134:135]
	v_mul_f64 v[124:125], v[154:155], s[30:31]
	v_mul_f64 v[132:133], v[160:161], s[30:31]
	v_fma_f64 v[120:121], v[28:29], s[26:27], v[120:121]
	v_fma_f64 v[122:123], v[30:31], s[26:27], -v[122:123]
	v_fma_f64 v[134:135], v[28:29], s[8:9], -v[116:117]
	v_fma_f64 v[150:151], v[30:31], s[8:9], v[118:119]
	v_fma_f64 v[28:29], v[28:29], s[8:9], v[116:117]
	v_fma_f64 v[30:31], v[30:31], s[8:9], -v[118:119]
	v_fma_f64 v[116:117], v[32:33], s[26:27], -v[124:125]
	v_fma_f64 v[118:119], v[34:35], s[26:27], v[132:133]
	v_add_f64 v[152:153], v[120:121], v[126:127]
	v_add_f64 v[156:157], v[122:123], v[156:157]
	v_mul_f64 v[120:121], v[154:155], s[34:35]
	v_mul_f64 v[122:123], v[160:161], s[34:35]
	v_add_f64 v[142:143], v[162:163], v[142:143]
	v_add_f64 v[12:13], v[28:29], v[12:13]
	;; [unrolled: 1-line block ×4, first 2 shown]
	v_fma_f64 v[16:17], v[32:33], s[26:27], v[124:125]
	v_fma_f64 v[18:19], v[34:35], s[26:27], -v[132:133]
	v_mul_f64 v[132:133], v[154:155], s[24:25]
	v_add_f64 v[14:15], v[30:31], v[14:15]
	v_fma_f64 v[28:29], v[32:33], s[20:21], -v[120:121]
	v_fma_f64 v[30:31], v[34:35], s[20:21], v[122:123]
	v_mul_f64 v[162:163], v[160:161], s[24:25]
	v_add_f64 v[146:147], v[134:135], v[146:147]
	v_add_f64 v[124:125], v[16:17], v[20:21]
	;; [unrolled: 1-line block ×3, first 2 shown]
	v_fma_f64 v[16:17], v[32:33], s[22:23], -v[132:133]
	v_fma_f64 v[134:135], v[32:33], s[20:21], v[120:121]
	v_fma_f64 v[158:159], v[34:35], s[20:21], -v[122:123]
	v_add_f64 v[126:127], v[18:19], v[22:23]
	v_add_f64 v[120:121], v[28:29], v[24:25]
	;; [unrolled: 1-line block ×3, first 2 shown]
	v_fma_f64 v[18:19], v[34:35], s[22:23], v[162:163]
	v_fma_f64 v[20:21], v[32:33], s[22:23], v[132:133]
	v_fma_f64 v[22:23], v[34:35], s[22:23], -v[162:163]
	v_mul_f64 v[24:25], v[154:155], s[18:19]
	v_mul_f64 v[26:27], v[160:161], s[18:19]
	v_add_f64 v[132:133], v[16:17], v[140:141]
	v_mul_f64 v[16:17], v[154:155], s[16:17]
	v_mul_f64 v[28:29], v[160:161], s[16:17]
	v_add_f64 v[128:129], v[134:135], v[128:129]
	v_add_f64 v[134:135], v[18:19], v[142:143]
	;; [unrolled: 1-line block ×4, first 2 shown]
	v_fma_f64 v[18:19], v[32:33], s[8:9], -v[24:25]
	v_fma_f64 v[20:21], v[34:35], s[8:9], v[26:27]
	v_fma_f64 v[22:23], v[32:33], s[8:9], v[24:25]
	v_fma_f64 v[24:25], v[32:33], s[10:11], -v[16:17]
	v_fma_f64 v[30:31], v[34:35], s[10:11], v[28:29]
	v_fma_f64 v[16:17], v[32:33], s[10:11], v[16:17]
	v_fma_f64 v[28:29], v[34:35], s[10:11], -v[28:29]
	v_fma_f64 v[26:27], v[34:35], s[8:9], -v[26:27]
	v_add_f64 v[130:131], v[158:159], v[130:131]
	v_add_f64 v[140:141], v[18:19], v[144:145]
	;; [unrolled: 1-line block ×9, first 2 shown]
	ds_write_b128 v255, v[112:115]
	ds_write_b128 v255, v[116:119] offset:1904
	ds_write_b128 v255, v[120:123] offset:3808
	;; [unrolled: 1-line block ×10, first 2 shown]
	s_waitcnt vmcnt(0) lgkmcnt(0)
	s_barrier
	s_and_saveexec_b64 s[8:9], s[0:1]
	s_cbranch_execz .LBB0_13
; %bb.12:
	v_add_co_u32_e32 v12, vcc, s12, v255
	v_mov_b32_e32 v0, s13
	v_addc_co_u32_e32 v13, vcc, 0, v0, vcc
	v_add_co_u32_e32 v26, vcc, 0x51d0, v12
	v_addc_co_u32_e32 v27, vcc, 0, v13, vcc
	v_add_co_u32_e32 v18, vcc, 0x5000, v12
	v_addc_co_u32_e32 v19, vcc, 0, v13, vcc
	global_load_dwordx4 v[18:21], v[18:19], off offset:464
	ds_read_b128 v[14:17], v255
	s_movk_i32 s10, 0x6000
	s_waitcnt vmcnt(0) lgkmcnt(0)
	v_mul_f64 v[22:23], v[16:17], v[20:21]
	v_fma_f64 v[22:23], v[14:15], v[18:19], -v[22:23]
	v_mul_f64 v[14:15], v[14:15], v[20:21]
	v_fma_f64 v[24:25], v[16:17], v[18:19], v[14:15]
	global_load_dwordx4 v[18:21], v[26:27], off offset:1232
	ds_read_b128 v[14:17], v255 offset:1232
	ds_write_b128 v255, v[22:25]
	s_waitcnt vmcnt(0) lgkmcnt(1)
	v_mul_f64 v[22:23], v[16:17], v[20:21]
	v_fma_f64 v[22:23], v[14:15], v[18:19], -v[22:23]
	v_mul_f64 v[14:15], v[14:15], v[20:21]
	v_fma_f64 v[24:25], v[16:17], v[18:19], v[14:15]
	global_load_dwordx4 v[18:21], v[26:27], off offset:2464
	ds_read_b128 v[14:17], v255 offset:2464
	ds_write_b128 v255, v[22:25] offset:1232
	s_waitcnt vmcnt(0) lgkmcnt(1)
	v_mul_f64 v[22:23], v[16:17], v[20:21]
	v_fma_f64 v[22:23], v[14:15], v[18:19], -v[22:23]
	v_mul_f64 v[14:15], v[14:15], v[20:21]
	v_fma_f64 v[24:25], v[16:17], v[18:19], v[14:15]
	global_load_dwordx4 v[18:21], v[26:27], off offset:3696
	ds_read_b128 v[14:17], v255 offset:3696
	v_add_co_u32_e32 v26, vcc, s10, v12
	v_addc_co_u32_e32 v27, vcc, 0, v13, vcc
	s_movk_i32 s10, 0x7000
	ds_write_b128 v255, v[22:25] offset:2464
	s_waitcnt vmcnt(0) lgkmcnt(1)
	v_mul_f64 v[22:23], v[16:17], v[20:21]
	v_fma_f64 v[22:23], v[14:15], v[18:19], -v[22:23]
	v_mul_f64 v[14:15], v[14:15], v[20:21]
	v_fma_f64 v[24:25], v[16:17], v[18:19], v[14:15]
	global_load_dwordx4 v[18:21], v[26:27], off offset:1296
	ds_read_b128 v[14:17], v255 offset:4928
	ds_write_b128 v255, v[22:25] offset:3696
	s_waitcnt vmcnt(0) lgkmcnt(1)
	v_mul_f64 v[22:23], v[16:17], v[20:21]
	v_fma_f64 v[22:23], v[14:15], v[18:19], -v[22:23]
	v_mul_f64 v[14:15], v[14:15], v[20:21]
	v_fma_f64 v[24:25], v[16:17], v[18:19], v[14:15]
	global_load_dwordx4 v[18:21], v[26:27], off offset:2528
	ds_read_b128 v[14:17], v255 offset:6160
	ds_write_b128 v255, v[22:25] offset:4928
	s_waitcnt vmcnt(0) lgkmcnt(1)
	v_mul_f64 v[22:23], v[16:17], v[20:21]
	v_fma_f64 v[22:23], v[14:15], v[18:19], -v[22:23]
	v_mul_f64 v[14:15], v[14:15], v[20:21]
	v_fma_f64 v[24:25], v[16:17], v[18:19], v[14:15]
	global_load_dwordx4 v[18:21], v[26:27], off offset:3760
	ds_read_b128 v[14:17], v255 offset:7392
	v_add_co_u32_e32 v26, vcc, s10, v12
	v_addc_co_u32_e32 v27, vcc, 0, v13, vcc
	s_mov_b32 s10, 0x8000
	ds_write_b128 v255, v[22:25] offset:6160
	s_waitcnt vmcnt(0) lgkmcnt(1)
	v_mul_f64 v[22:23], v[16:17], v[20:21]
	v_fma_f64 v[22:23], v[14:15], v[18:19], -v[22:23]
	v_mul_f64 v[14:15], v[14:15], v[20:21]
	v_fma_f64 v[24:25], v[16:17], v[18:19], v[14:15]
	global_load_dwordx4 v[18:21], v[26:27], off offset:896
	ds_read_b128 v[14:17], v255 offset:8624
	ds_write_b128 v255, v[22:25] offset:7392
	s_waitcnt vmcnt(0) lgkmcnt(1)
	v_mul_f64 v[22:23], v[16:17], v[20:21]
	v_fma_f64 v[22:23], v[14:15], v[18:19], -v[22:23]
	v_mul_f64 v[14:15], v[14:15], v[20:21]
	v_fma_f64 v[24:25], v[16:17], v[18:19], v[14:15]
	global_load_dwordx4 v[18:21], v[26:27], off offset:2128
	ds_read_b128 v[14:17], v255 offset:9856
	;; [unrolled: 8-line block ×3, first 2 shown]
	v_add_co_u32_e32 v26, vcc, s10, v12
	v_addc_co_u32_e32 v27, vcc, 0, v13, vcc
	s_mov_b32 s10, 0x9000
	ds_write_b128 v255, v[22:25] offset:9856
	s_waitcnt vmcnt(0) lgkmcnt(1)
	v_mul_f64 v[22:23], v[16:17], v[20:21]
	v_fma_f64 v[22:23], v[14:15], v[18:19], -v[22:23]
	v_mul_f64 v[14:15], v[14:15], v[20:21]
	v_fma_f64 v[24:25], v[16:17], v[18:19], v[14:15]
	global_load_dwordx4 v[18:21], v[26:27], off offset:496
	ds_read_b128 v[14:17], v255 offset:12320
	ds_write_b128 v255, v[22:25] offset:11088
	s_waitcnt vmcnt(0) lgkmcnt(1)
	v_mul_f64 v[22:23], v[16:17], v[20:21]
	v_fma_f64 v[22:23], v[14:15], v[18:19], -v[22:23]
	v_mul_f64 v[14:15], v[14:15], v[20:21]
	v_fma_f64 v[24:25], v[16:17], v[18:19], v[14:15]
	global_load_dwordx4 v[18:21], v[26:27], off offset:1728
	ds_read_b128 v[14:17], v255 offset:13552
	ds_write_b128 v255, v[22:25] offset:12320
	s_waitcnt vmcnt(0) lgkmcnt(1)
	v_mul_f64 v[22:23], v[16:17], v[20:21]
	v_fma_f64 v[22:23], v[14:15], v[18:19], -v[22:23]
	v_mul_f64 v[14:15], v[14:15], v[20:21]
	v_fma_f64 v[24:25], v[16:17], v[18:19], v[14:15]
	global_load_dwordx4 v[18:21], v[26:27], off offset:2960
	ds_read_b128 v[14:17], v255 offset:14784
	ds_write_b128 v255, v[22:25] offset:13552
	s_waitcnt vmcnt(0) lgkmcnt(1)
	v_mul_f64 v[22:23], v[16:17], v[20:21]
	v_fma_f64 v[22:23], v[14:15], v[18:19], -v[22:23]
	v_mul_f64 v[14:15], v[14:15], v[20:21]
	v_fma_f64 v[24:25], v[16:17], v[18:19], v[14:15]
	ds_read_b128 v[14:17], v255 offset:16016
	ds_write_b128 v255, v[22:25] offset:14784
	v_add_co_u32_e32 v24, vcc, s10, v12
	v_addc_co_u32_e32 v25, vcc, 0, v13, vcc
	global_load_dwordx4 v[18:21], v[24:25], off offset:96
	s_waitcnt vmcnt(0) lgkmcnt(1)
	v_mul_f64 v[12:13], v[16:17], v[20:21]
	v_fma_f64 v[12:13], v[14:15], v[18:19], -v[12:13]
	v_mul_f64 v[14:15], v[14:15], v[20:21]
	v_fma_f64 v[14:15], v[16:17], v[18:19], v[14:15]
	global_load_dwordx4 v[16:19], v[24:25], off offset:1328
	ds_write_b128 v255, v[12:15] offset:16016
	ds_read_b128 v[12:15], v255 offset:17248
	s_waitcnt vmcnt(0) lgkmcnt(0)
	v_mul_f64 v[20:21], v[14:15], v[18:19]
	v_fma_f64 v[20:21], v[12:13], v[16:17], -v[20:21]
	v_mul_f64 v[12:13], v[12:13], v[18:19]
	v_fma_f64 v[22:23], v[14:15], v[16:17], v[12:13]
	global_load_dwordx4 v[16:19], v[24:25], off offset:2560
	ds_read_b128 v[12:15], v255 offset:18480
	ds_write_b128 v255, v[20:23] offset:17248
	s_waitcnt vmcnt(0) lgkmcnt(1)
	v_mul_f64 v[20:21], v[14:15], v[18:19]
	v_fma_f64 v[20:21], v[12:13], v[16:17], -v[20:21]
	v_mul_f64 v[12:13], v[12:13], v[18:19]
	v_fma_f64 v[22:23], v[14:15], v[16:17], v[12:13]
	global_load_dwordx4 v[16:19], v[24:25], off offset:3792
	ds_read_b128 v[12:15], v255 offset:19712
	ds_write_b128 v255, v[20:23] offset:18480
	s_waitcnt vmcnt(0) lgkmcnt(1)
	v_mul_f64 v[20:21], v[14:15], v[18:19]
	v_fma_f64 v[20:21], v[12:13], v[16:17], -v[20:21]
	v_mul_f64 v[12:13], v[12:13], v[18:19]
	v_fma_f64 v[22:23], v[14:15], v[16:17], v[12:13]
	ds_write_b128 v255, v[20:23] offset:19712
.LBB0_13:
	s_or_b64 exec, exec, s[8:9]
	s_waitcnt lgkmcnt(0)
	s_barrier
	s_and_saveexec_b64 s[8:9], s[0:1]
	s_cbranch_execz .LBB0_15
; %bb.14:
	ds_read_b128 v[112:115], v255
	ds_read_b128 v[116:119], v255 offset:1232
	ds_read_b128 v[120:123], v255 offset:2464
	;; [unrolled: 1-line block ×16, first 2 shown]
.LBB0_15:
	s_or_b64 exec, exec, s[8:9]
	s_waitcnt lgkmcnt(0)
	v_add_f64 v[40:41], v[118:119], -v[6:7]
	s_mov_b32 s16, 0xeb564b22
	s_mov_b32 s17, 0xbfefdd0d
	v_add_f64 v[62:63], v[118:119], v[6:7]
	s_mov_b32 s8, 0x3259b75e
	s_mov_b32 s9, 0x3fb79ee6
	v_add_f64 v[197:198], v[116:117], v[4:5]
	s_mov_b32 s20, 0x923c349f
	v_mul_f64 v[0:1], v[40:41], s[16:17]
	s_mov_b32 s21, 0xbfeec746
	v_add_f64 v[203:204], v[116:117], -v[4:5]
	v_mul_f64 v[2:3], v[62:63], s[8:9]
	s_mov_b32 s10, 0xc61f0d01
	s_mov_b32 s11, 0xbfd183b1
	v_add_f64 v[42:43], v[122:123], -v[10:11]
	s_mov_b32 s30, 0xacd6c6b4
	buffer_store_dword v0, off, s[64:67], 0 offset:192 ; 4-byte Folded Spill
	s_nop 0
	buffer_store_dword v1, off, s[64:67], 0 offset:196 ; 4-byte Folded Spill
	buffer_store_dword v2, off, s[64:67], 0 offset:360 ; 4-byte Folded Spill
	s_nop 0
	buffer_store_dword v3, off, s[64:67], 0 offset:364 ; 4-byte Folded Spill
	s_mov_b32 s31, 0xbfc7851a
	v_add_f64 v[205:206], v[120:121], v[8:9]
	v_add_f64 v[110:111], v[122:123], v[10:11]
	v_mul_f64 v[60:61], v[42:43], s[30:31]
	s_mov_b32 s26, 0x7faef3
	s_mov_b32 s27, 0xbfef7484
	v_add_f64 v[211:212], v[120:121], -v[8:9]
	s_mov_b32 s28, 0x4363dd80
	s_mov_b32 s29, 0xbfe0d888
	;; [unrolled: 1-line block ×3, first 2 shown]
	v_mul_f64 v[188:189], v[110:111], s[26:27]
	v_fma_f64 v[160:161], v[205:206], s[26:27], -v[60:61]
	s_mov_b32 s42, s28
	v_mul_f64 v[207:208], v[42:43], s[42:43]
	s_mov_b32 s24, 0x6c9a05f6
	s_mov_b32 s22, 0x910ea3b9
	;; [unrolled: 1-line block ×4, first 2 shown]
	v_mul_f64 v[64:65], v[40:41], s[24:25]
	v_mul_f64 v[76:77], v[110:111], s[22:23]
	s_mov_b32 s18, 0x6ed5f1bb
	s_mov_b32 s19, 0xbfe348c8
	;; [unrolled: 1-line block ×4, first 2 shown]
	v_mul_f64 v[48:49], v[62:63], s[18:19]
	v_mul_f64 v[52:53], v[42:43], s[46:47]
	v_fma_f64 v[20:21], v[197:198], s[18:19], -v[64:65]
	v_mul_f64 v[209:210], v[110:111], s[10:11]
	v_add_f64 v[219:220], v[134:135], -v[38:39]
	s_mov_b32 s56, 0x2a9d6da3
	v_mul_f64 v[24:25], v[40:41], s[28:29]
	s_mov_b32 s57, 0x3fe58eea
	v_fma_f64 v[22:23], v[203:204], s[24:25], v[48:49]
	v_add_f64 v[215:216], v[134:135], v[38:39]
	v_add_f64 v[20:21], v[112:113], v[20:21]
	s_mov_b32 s50, 0x7c9e640b
	s_mov_b32 s51, 0x3feca52d
	;; [unrolled: 1-line block ×3, first 2 shown]
	v_fma_f64 v[26:27], v[197:198], s[22:23], v[24:25]
	s_mov_b32 s45, 0x3fe7a5f6
	v_add_f64 v[22:23], v[114:115], v[22:23]
	s_mov_b32 s34, 0x2b2883cd
	s_mov_b32 s35, 0x3fdc86fa
	v_mul_f64 v[28:29], v[62:63], s[22:23]
	v_fma_f64 v[24:25], v[197:198], s[22:23], -v[24:25]
	v_mul_f64 v[32:33], v[40:41], s[30:31]
	v_add_f64 v[26:27], v[112:113], v[26:27]
	s_mov_b32 s52, 0x5d8e7cdc
	s_mov_b32 s53, 0x3fd71e95
	;; [unrolled: 1-line block ×4, first 2 shown]
	v_fma_f64 v[30:31], v[203:204], s[42:43], v[28:29]
	v_add_f64 v[24:25], v[112:113], v[24:25]
	v_fma_f64 v[28:29], v[203:204], s[28:29], v[28:29]
	v_fma_f64 v[34:35], v[197:198], s[26:27], v[32:33]
	s_mov_b32 s36, s50
	s_mov_b32 s39, 0x3fedd6d0
	v_mul_f64 v[156:157], v[62:63], s[26:27]
	v_fma_f64 v[32:33], v[197:198], s[26:27], -v[32:33]
	s_mov_b32 s49, 0x3fc7851a
	s_mov_b32 s48, s30
	v_add_f64 v[28:29], v[114:115], v[28:29]
	v_add_f64 v[34:35], v[112:113], v[34:35]
	;; [unrolled: 1-line block ×3, first 2 shown]
	v_mul_f64 v[74:75], v[219:220], s[46:47]
	v_fma_f64 v[158:159], v[203:204], s[48:49], v[156:157]
	v_add_f64 v[32:33], v[112:113], v[32:33]
	v_fma_f64 v[156:157], v[203:204], s[30:31], v[156:157]
	v_add_f64 v[217:218], v[132:133], -v[36:37]
	v_mul_f64 v[54:55], v[215:216], s[10:11]
	s_mov_b32 s41, 0xbfd71e95
	s_mov_b32 s40, s52
	v_add_f64 v[227:228], v[142:143], -v[108:109]
	v_add_f64 v[223:224], v[142:143], v[108:109]
	v_add_f64 v[30:31], v[114:115], v[30:31]
	v_fma_f64 v[12:13], v[197:198], s[8:9], -v[0:1]
	v_mul_f64 v[0:1], v[40:41], s[20:21]
	v_add_f64 v[156:157], v[114:115], v[156:157]
	v_fma_f64 v[14:15], v[203:204], s[16:17], v[2:3]
	v_mul_f64 v[2:3], v[62:63], s[10:11]
	v_add_f64 v[158:159], v[114:115], v[158:159]
	s_mov_b32 s59, 0x3fefdd0d
	s_mov_b32 s58, s16
	buffer_store_dword v0, off, s[64:67], 0 offset:408 ; 4-byte Folded Spill
	s_nop 0
	buffer_store_dword v1, off, s[64:67], 0 offset:412 ; 4-byte Folded Spill
	buffer_store_dword v2, off, s[64:67], 0 offset:432 ; 4-byte Folded Spill
	s_nop 0
	buffer_store_dword v3, off, s[64:67], 0 offset:436 ; 4-byte Folded Spill
	v_add_f64 v[12:13], v[112:113], v[12:13]
	v_add_f64 v[14:15], v[114:115], v[14:15]
	;; [unrolled: 1-line block ×3, first 2 shown]
	v_add_f64 v[225:226], v[140:141], -v[106:107]
	v_add_f64 v[241:242], v[146:147], -v[104:105]
	v_add_f64 v[231:232], v[146:147], v[104:105]
	s_mov_b32 s61, 0x3fe9895b
	s_mov_b32 s60, s24
	v_add_f64 v[12:13], v[160:161], v[12:13]
	v_fma_f64 v[160:161], v[211:212], s[30:31], v[188:189]
	v_add_f64 v[229:230], v[144:145], v[102:103]
	v_add_f64 v[235:236], v[144:145], -v[102:103]
	v_add_f64 v[233:234], v[154:155], -v[100:101]
	s_mov_b32 s55, 0xbfe58eea
	s_mov_b32 s54, s56
	v_add_f64 v[247:248], v[154:155], v[100:101]
	v_add_f64 v[245:246], v[152:153], v[98:99]
	v_add_f64 v[14:15], v[160:161], v[14:15]
	v_fma_f64 v[160:161], v[205:206], s[22:23], -v[207:208]
	v_add_f64 v[253:254], v[152:153], -v[98:99]
	v_mul_f64 v[186:187], v[233:234], s[54:55]
	v_add_f64 v[249:250], v[150:151], -v[126:127]
	v_add_f64 v[239:240], v[150:151], v[126:127]
	v_add_f64 v[237:238], v[148:149], v[124:125]
	v_add_f64 v[243:244], v[148:149], -v[124:125]
	v_add_f64 v[251:252], v[136:137], v[128:129]
	v_fma_f64 v[16:17], v[197:198], s[10:11], -v[0:1]
	v_mul_f64 v[0:1], v[219:220], s[56:57]
	buffer_store_dword v0, off, s[64:67], 0 offset:232 ; 4-byte Folded Spill
	s_nop 0
	buffer_store_dword v1, off, s[64:67], 0 offset:236 ; 4-byte Folded Spill
	v_add_f64 v[16:17], v[112:113], v[16:17]
	v_fma_f64 v[18:19], v[203:204], s[20:21], v[2:3]
	v_mul_f64 v[2:3], v[215:216], s[44:45]
	buffer_store_dword v2, off, s[64:67], 0 offset:240 ; 4-byte Folded Spill
	s_nop 0
	buffer_store_dword v3, off, s[64:67], 0 offset:244 ; 4-byte Folded Spill
	v_add_f64 v[18:19], v[114:115], v[18:19]
	v_add_f64 v[16:17], v[160:161], v[16:17]
	v_fma_f64 v[160:161], v[211:212], s[42:43], v[76:77]
	v_add_f64 v[18:19], v[160:161], v[18:19]
	v_fma_f64 v[160:161], v[205:206], s[10:11], -v[52:53]
	v_add_f64 v[20:21], v[160:161], v[20:21]
	v_fma_f64 v[160:161], v[211:212], s[46:47], v[209:210]
	v_add_f64 v[22:23], v[160:161], v[22:23]
	v_mul_f64 v[160:161], v[42:43], s[50:51]
	v_fma_f64 v[162:163], v[205:206], s[34:35], v[160:161]
	v_fma_f64 v[160:161], v[205:206], s[34:35], -v[160:161]
	v_add_f64 v[26:27], v[162:163], v[26:27]
	v_mul_f64 v[162:163], v[110:111], s[34:35]
	v_add_f64 v[24:25], v[160:161], v[24:25]
	v_fma_f64 v[160:161], v[211:212], s[50:51], v[162:163]
	v_fma_f64 v[164:165], v[211:212], s[36:37], v[162:163]
	v_add_f64 v[28:29], v[160:161], v[28:29]
	v_mul_f64 v[160:161], v[42:43], s[52:53]
	v_add_f64 v[30:31], v[164:165], v[30:31]
	v_fma_f64 v[162:163], v[205:206], s[38:39], v[160:161]
	v_fma_f64 v[160:161], v[205:206], s[38:39], -v[160:161]
	v_add_f64 v[34:35], v[162:163], v[34:35]
	v_mul_f64 v[162:163], v[110:111], s[38:39]
	v_add_f64 v[32:33], v[160:161], v[32:33]
	v_fma_f64 v[160:161], v[211:212], s[52:53], v[162:163]
	v_fma_f64 v[164:165], v[211:212], s[40:41], v[162:163]
	v_add_f64 v[156:157], v[160:161], v[156:157]
	v_fma_f64 v[160:161], v[213:214], s[10:11], -v[74:75]
	v_add_f64 v[158:159], v[164:165], v[158:159]
	v_add_f64 v[12:13], v[160:161], v[12:13]
	v_fma_f64 v[160:161], v[217:218], s[46:47], v[54:55]
	v_add_f64 v[14:15], v[160:161], v[14:15]
	v_fma_f64 v[160:161], v[213:214], s[44:45], -v[0:1]
	v_mul_f64 v[0:1], v[219:220], s[40:41]
	buffer_store_dword v0, off, s[64:67], 0 offset:264 ; 4-byte Folded Spill
	s_nop 0
	buffer_store_dword v1, off, s[64:67], 0 offset:268 ; 4-byte Folded Spill
	v_add_f64 v[16:17], v[160:161], v[16:17]
	v_fma_f64 v[160:161], v[217:218], s[56:57], v[2:3]
	v_mul_f64 v[2:3], v[215:216], s[38:39]
	buffer_store_dword v2, off, s[64:67], 0 offset:288 ; 4-byte Folded Spill
	s_nop 0
	buffer_store_dword v3, off, s[64:67], 0 offset:292 ; 4-byte Folded Spill
	v_add_f64 v[18:19], v[160:161], v[18:19]
	v_fma_f64 v[160:161], v[213:214], s[38:39], -v[0:1]
	v_mul_f64 v[0:1], v[227:228], s[52:53]
	buffer_store_dword v0, off, s[64:67], 0 offset:248 ; 4-byte Folded Spill
	s_nop 0
	buffer_store_dword v1, off, s[64:67], 0 offset:252 ; 4-byte Folded Spill
	v_add_f64 v[20:21], v[160:161], v[20:21]
	v_fma_f64 v[160:161], v[217:218], s[40:41], v[2:3]
	v_mul_f64 v[2:3], v[223:224], s[38:39]
	buffer_store_dword v2, off, s[64:67], 0 offset:256 ; 4-byte Folded Spill
	s_nop 0
	buffer_store_dword v3, off, s[64:67], 0 offset:260 ; 4-byte Folded Spill
	v_add_f64 v[22:23], v[160:161], v[22:23]
	v_mul_f64 v[160:161], v[219:220], s[16:17]
	v_fma_f64 v[162:163], v[213:214], s[8:9], v[160:161]
	v_fma_f64 v[160:161], v[213:214], s[8:9], -v[160:161]
	v_add_f64 v[26:27], v[162:163], v[26:27]
	v_mul_f64 v[162:163], v[215:216], s[8:9]
	v_add_f64 v[24:25], v[160:161], v[24:25]
	v_fma_f64 v[160:161], v[217:218], s[16:17], v[162:163]
	v_fma_f64 v[164:165], v[217:218], s[58:59], v[162:163]
	v_add_f64 v[28:29], v[160:161], v[28:29]
	v_mul_f64 v[160:161], v[219:220], s[28:29]
	v_add_f64 v[30:31], v[164:165], v[30:31]
	v_fma_f64 v[162:163], v[213:214], s[22:23], v[160:161]
	v_fma_f64 v[160:161], v[213:214], s[22:23], -v[160:161]
	v_add_f64 v[34:35], v[162:163], v[34:35]
	v_mul_f64 v[162:163], v[215:216], s[22:23]
	v_add_f64 v[32:33], v[160:161], v[32:33]
	v_fma_f64 v[160:161], v[217:218], s[28:29], v[162:163]
	v_fma_f64 v[164:165], v[217:218], s[42:43], v[162:163]
	v_add_f64 v[156:157], v[160:161], v[156:157]
	v_fma_f64 v[160:161], v[221:222], s[38:39], -v[0:1]
	v_mul_f64 v[0:1], v[227:228], s[36:37]
	buffer_store_dword v0, off, s[64:67], 0 offset:280 ; 4-byte Folded Spill
	s_nop 0
	buffer_store_dword v1, off, s[64:67], 0 offset:284 ; 4-byte Folded Spill
	v_add_f64 v[12:13], v[160:161], v[12:13]
	v_fma_f64 v[160:161], v[225:226], s[52:53], v[2:3]
	v_mul_f64 v[2:3], v[223:224], s[34:35]
	buffer_store_dword v2, off, s[64:67], 0 offset:312 ; 4-byte Folded Spill
	s_nop 0
	buffer_store_dword v3, off, s[64:67], 0 offset:316 ; 4-byte Folded Spill
	v_add_f64 v[14:15], v[160:161], v[14:15]
	v_add_f64 v[158:159], v[164:165], v[158:159]
	v_fma_f64 v[160:161], v[221:222], s[34:35], -v[0:1]
	v_mul_f64 v[0:1], v[227:228], s[28:29]
	buffer_store_dword v0, off, s[64:67], 0 offset:336 ; 4-byte Folded Spill
	s_nop 0
	buffer_store_dword v1, off, s[64:67], 0 offset:340 ; 4-byte Folded Spill
	v_add_f64 v[16:17], v[160:161], v[16:17]
	v_fma_f64 v[160:161], v[225:226], s[36:37], v[2:3]
	v_mul_f64 v[2:3], v[223:224], s[22:23]
	buffer_store_dword v2, off, s[64:67], 0 offset:376 ; 4-byte Folded Spill
	s_nop 0
	buffer_store_dword v3, off, s[64:67], 0 offset:380 ; 4-byte Folded Spill
	v_add_f64 v[18:19], v[160:161], v[18:19]
	v_fma_f64 v[160:161], v[221:222], s[22:23], -v[0:1]
	v_mul_f64 v[0:1], v[241:242], s[36:37]
	buffer_store_dword v0, off, s[64:67], 0 offset:304 ; 4-byte Folded Spill
	s_nop 0
	buffer_store_dword v1, off, s[64:67], 0 offset:308 ; 4-byte Folded Spill
	v_add_f64 v[20:21], v[160:161], v[20:21]
	v_fma_f64 v[160:161], v[225:226], s[28:29], v[2:3]
	v_mul_f64 v[2:3], v[231:232], s[34:35]
	buffer_store_dword v2, off, s[64:67], 0 offset:328 ; 4-byte Folded Spill
	s_nop 0
	buffer_store_dword v3, off, s[64:67], 0 offset:332 ; 4-byte Folded Spill
	v_add_f64 v[22:23], v[160:161], v[22:23]
	v_mul_f64 v[160:161], v[227:228], s[60:61]
	v_fma_f64 v[162:163], v[221:222], s[18:19], v[160:161]
	v_fma_f64 v[160:161], v[221:222], s[18:19], -v[160:161]
	v_add_f64 v[26:27], v[162:163], v[26:27]
	v_mul_f64 v[162:163], v[223:224], s[18:19]
	v_add_f64 v[24:25], v[160:161], v[24:25]
	v_fma_f64 v[160:161], v[225:226], s[60:61], v[162:163]
	v_fma_f64 v[164:165], v[225:226], s[24:25], v[162:163]
	v_add_f64 v[28:29], v[160:161], v[28:29]
	v_mul_f64 v[160:161], v[227:228], s[56:57]
	v_add_f64 v[30:31], v[164:165], v[30:31]
	v_fma_f64 v[162:163], v[221:222], s[44:45], v[160:161]
	v_fma_f64 v[160:161], v[221:222], s[44:45], -v[160:161]
	v_add_f64 v[34:35], v[162:163], v[34:35]
	v_mul_f64 v[162:163], v[223:224], s[44:45]
	v_add_f64 v[32:33], v[160:161], v[32:33]
	v_fma_f64 v[160:161], v[225:226], s[56:57], v[162:163]
	v_fma_f64 v[164:165], v[225:226], s[54:55], v[162:163]
	v_add_f64 v[156:157], v[160:161], v[156:157]
	v_fma_f64 v[160:161], v[229:230], s[34:35], -v[0:1]
	v_mul_f64 v[0:1], v[241:242], s[30:31]
	buffer_store_dword v0, off, s[64:67], 0 offset:352 ; 4-byte Folded Spill
	s_nop 0
	buffer_store_dword v1, off, s[64:67], 0 offset:356 ; 4-byte Folded Spill
	v_add_f64 v[12:13], v[160:161], v[12:13]
	v_fma_f64 v[160:161], v[235:236], s[36:37], v[2:3]
	v_mul_f64 v[2:3], v[231:232], s[26:27]
	buffer_store_dword v2, off, s[64:67], 0 offset:416 ; 4-byte Folded Spill
	s_nop 0
	buffer_store_dword v3, off, s[64:67], 0 offset:420 ; 4-byte Folded Spill
	v_add_f64 v[14:15], v[160:161], v[14:15]
	v_add_f64 v[158:159], v[164:165], v[158:159]
	v_fma_f64 v[160:161], v[229:230], s[26:27], -v[0:1]
	v_mul_f64 v[0:1], v[241:242], s[58:59]
	v_add_f64 v[16:17], v[160:161], v[16:17]
	v_mov_b32_e32 v185, v1
	v_mov_b32_e32 v184, v0
	v_fma_f64 v[160:161], v[235:236], s[30:31], v[2:3]
	v_mul_f64 v[2:3], v[231:232], s[8:9]
	v_add_f64 v[18:19], v[160:161], v[18:19]
	v_fma_f64 v[160:161], v[229:230], s[8:9], -v[0:1]
	v_mul_f64 v[0:1], v[233:234], s[28:29]
	buffer_store_dword v0, off, s[64:67], 0 offset:368 ; 4-byte Folded Spill
	s_nop 0
	buffer_store_dword v1, off, s[64:67], 0 offset:372 ; 4-byte Folded Spill
	v_add_f64 v[20:21], v[160:161], v[20:21]
	v_fma_f64 v[160:161], v[235:236], s[58:59], v[2:3]
	v_mov_b32_e32 v200, v3
	v_mov_b32_e32 v199, v2
	v_mul_f64 v[2:3], v[247:248], s[22:23]
	buffer_store_dword v2, off, s[64:67], 0 offset:392 ; 4-byte Folded Spill
	s_nop 0
	buffer_store_dword v3, off, s[64:67], 0 offset:396 ; 4-byte Folded Spill
	v_add_f64 v[160:161], v[160:161], v[22:23]
	v_mul_f64 v[22:23], v[241:242], s[40:41]
	v_fma_f64 v[162:163], v[229:230], s[38:39], v[22:23]
	v_fma_f64 v[22:23], v[229:230], s[38:39], -v[22:23]
	v_add_f64 v[26:27], v[162:163], v[26:27]
	v_mul_f64 v[162:163], v[231:232], s[38:39]
	v_add_f64 v[24:25], v[22:23], v[24:25]
	v_fma_f64 v[22:23], v[235:236], s[40:41], v[162:163]
	v_fma_f64 v[164:165], v[235:236], s[52:53], v[162:163]
	v_add_f64 v[28:29], v[22:23], v[28:29]
	v_mul_f64 v[22:23], v[241:242], s[24:25]
	v_add_f64 v[30:31], v[164:165], v[30:31]
	v_fma_f64 v[162:163], v[229:230], s[18:19], v[22:23]
	v_fma_f64 v[22:23], v[229:230], s[18:19], -v[22:23]
	v_add_f64 v[34:35], v[162:163], v[34:35]
	v_mul_f64 v[162:163], v[231:232], s[18:19]
	v_add_f64 v[32:33], v[22:23], v[32:33]
	v_fma_f64 v[22:23], v[235:236], s[24:25], v[162:163]
	v_fma_f64 v[164:165], v[235:236], s[60:61], v[162:163]
	v_fma_f64 v[162:163], v[245:246], s[44:45], -v[186:187]
	v_add_f64 v[156:157], v[22:23], v[156:157]
	v_fma_f64 v[22:23], v[245:246], s[22:23], -v[0:1]
	v_mul_f64 v[0:1], v[233:234], s[58:59]
	buffer_store_dword v0, off, s[64:67], 0 offset:400 ; 4-byte Folded Spill
	s_nop 0
	buffer_store_dword v1, off, s[64:67], 0 offset:404 ; 4-byte Folded Spill
	v_add_f64 v[12:13], v[22:23], v[12:13]
	v_fma_f64 v[22:23], v[253:254], s[28:29], v[2:3]
	v_mul_f64 v[2:3], v[247:248], s[8:9]
	v_add_f64 v[20:21], v[162:163], v[20:21]
	v_add_f64 v[158:159], v[164:165], v[158:159]
	;; [unrolled: 1-line block ×3, first 2 shown]
	v_mov_b32_e32 v202, v3
	v_mov_b32_e32 v201, v2
	v_fma_f64 v[22:23], v[245:246], s[8:9], -v[0:1]
	v_mul_f64 v[0:1], v[249:250], s[60:61]
	buffer_store_dword v0, off, s[64:67], 0 offset:424 ; 4-byte Folded Spill
	s_nop 0
	buffer_store_dword v1, off, s[64:67], 0 offset:428 ; 4-byte Folded Spill
	v_add_f64 v[16:17], v[22:23], v[16:17]
	v_fma_f64 v[22:23], v[253:254], s[58:59], v[2:3]
	v_mul_f64 v[2:3], v[239:240], s[18:19]
	buffer_store_dword v2, off, s[64:67], 0 offset:440 ; 4-byte Folded Spill
	s_nop 0
	buffer_store_dword v3, off, s[64:67], 0 offset:444 ; 4-byte Folded Spill
	v_add_f64 v[18:19], v[22:23], v[18:19]
	v_mul_f64 v[22:23], v[247:248], s[44:45]
	v_fma_f64 v[162:163], v[253:254], s[54:55], v[22:23]
	v_add_f64 v[160:161], v[162:163], v[160:161]
	v_mul_f64 v[162:163], v[233:234], s[30:31]
	v_fma_f64 v[164:165], v[245:246], s[26:27], v[162:163]
	;; [unrolled: 3-line block ×3, first 2 shown]
	v_add_f64 v[166:167], v[166:167], v[30:31]
	v_fma_f64 v[30:31], v[245:246], s[26:27], -v[162:163]
	v_add_f64 v[24:25], v[30:31], v[24:25]
	v_fma_f64 v[30:31], v[253:254], s[30:31], v[164:165]
	v_add_f64 v[28:29], v[30:31], v[28:29]
	v_mul_f64 v[30:31], v[233:234], s[50:51]
	v_fma_f64 v[162:163], v[245:246], s[34:35], v[30:31]
	v_fma_f64 v[30:31], v[245:246], s[34:35], -v[30:31]
	v_add_f64 v[34:35], v[162:163], v[34:35]
	v_mul_f64 v[162:163], v[247:248], s[34:35]
	v_fma_f64 v[164:165], v[253:254], s[36:37], v[162:163]
	v_add_f64 v[158:159], v[164:165], v[158:159]
	v_add_f64 v[164:165], v[30:31], v[32:33]
	v_fma_f64 v[30:31], v[253:254], s[50:51], v[162:163]
	v_mul_f64 v[32:33], v[239:240], s[26:27]
	v_add_f64 v[156:157], v[30:31], v[156:157]
	v_fma_f64 v[30:31], v[237:238], s[18:19], -v[0:1]
	v_mul_f64 v[0:1], v[249:250], s[40:41]
	buffer_store_dword v0, off, s[64:67], 0 offset:448 ; 4-byte Folded Spill
	s_nop 0
	buffer_store_dword v1, off, s[64:67], 0 offset:452 ; 4-byte Folded Spill
	v_add_f64 v[162:163], v[30:31], v[12:13]
	v_fma_f64 v[12:13], v[243:244], s[60:61], v[2:3]
	v_mul_f64 v[2:3], v[239:240], s[38:39]
	buffer_store_dword v2, off, s[64:67], 0 offset:456 ; 4-byte Folded Spill
	s_nop 0
	buffer_store_dword v3, off, s[64:67], 0 offset:460 ; 4-byte Folded Spill
	v_add_f64 v[168:169], v[12:13], v[14:15]
	v_mul_f64 v[30:31], v[249:250], s[30:31]
	s_waitcnt vmcnt(0)
	s_barrier
	v_fma_f64 v[12:13], v[237:238], s[38:39], -v[0:1]
	v_add_f64 v[170:171], v[12:13], v[16:17]
	v_fma_f64 v[12:13], v[243:244], s[40:41], v[2:3]
	v_add_f64 v[18:19], v[12:13], v[18:19]
	v_fma_f64 v[12:13], v[237:238], s[26:27], -v[30:31]
	v_add_f64 v[172:173], v[12:13], v[20:21]
	v_fma_f64 v[12:13], v[243:244], s[30:31], v[32:33]
	v_add_f64 v[174:175], v[12:13], v[160:161]
	v_mul_f64 v[12:13], v[249:250], s[56:57]
	v_fma_f64 v[14:15], v[237:238], s[44:45], v[12:13]
	v_fma_f64 v[2:3], v[237:238], s[44:45], -v[12:13]
	v_add_f64 v[182:183], v[14:15], v[26:27]
	v_mul_f64 v[14:15], v[239:240], s[44:45]
	v_add_f64 v[2:3], v[2:3], v[24:25]
	v_fma_f64 v[12:13], v[243:244], s[56:57], v[14:15]
	v_fma_f64 v[16:17], v[243:244], s[54:55], v[14:15]
	v_add_f64 v[190:191], v[12:13], v[28:29]
	v_mul_f64 v[12:13], v[249:250], s[20:21]
	v_add_f64 v[0:1], v[16:17], v[166:167]
	v_fma_f64 v[14:15], v[237:238], s[10:11], v[12:13]
	v_fma_f64 v[12:13], v[237:238], s[10:11], -v[12:13]
	v_add_f64 v[176:177], v[14:15], v[34:35]
	v_mul_f64 v[14:15], v[239:240], s[10:11]
	v_add_f64 v[180:181], v[12:13], v[164:165]
	v_fma_f64 v[16:17], v[243:244], s[46:47], v[14:15]
	v_fma_f64 v[12:13], v[243:244], s[20:21], v[14:15]
	v_add_f64 v[14:15], v[136:137], -v[128:129]
	v_add_f64 v[178:179], v[16:17], v[158:159]
	v_add_f64 v[16:17], v[138:139], -v[130:131]
	v_add_f64 v[34:35], v[12:13], v[156:157]
	v_add_f64 v[12:13], v[138:139], v[130:131]
	v_mul_f64 v[20:21], v[16:17], s[56:57]
	v_mul_f64 v[24:25], v[12:13], s[44:45]
	;; [unrolled: 1-line block ×4, first 2 shown]
	v_fma_f64 v[26:27], v[251:252], s[44:45], -v[20:21]
	v_fma_f64 v[166:167], v[14:15], s[50:51], v[192:193]
	v_add_f64 v[156:157], v[26:27], v[162:163]
	v_fma_f64 v[26:27], v[14:15], s[56:57], v[24:25]
	v_fma_f64 v[162:163], v[14:15], s[24:25], v[28:29]
	v_add_f64 v[166:167], v[166:167], v[174:175]
	v_mul_f64 v[174:175], v[12:13], s[10:11]
	v_add_f64 v[158:159], v[26:27], v[168:169]
	v_mul_f64 v[26:27], v[16:17], s[24:25]
	;; [unrolled: 2-line block ×3, first 2 shown]
	v_fma_f64 v[160:161], v[251:252], s[18:19], -v[26:27]
	v_fma_f64 v[164:165], v[251:252], s[34:35], -v[18:19]
	v_add_f64 v[160:161], v[160:161], v[170:171]
	v_fma_f64 v[170:171], v[14:15], s[46:47], v[174:175]
	v_add_f64 v[164:165], v[164:165], v[172:173]
	v_mul_f64 v[172:173], v[16:17], s[20:21]
	v_add_f64 v[170:171], v[170:171], v[0:1]
	v_fma_f64 v[0:1], v[251:252], s[10:11], -v[172:173]
	v_fma_f64 v[168:169], v[251:252], s[10:11], v[172:173]
	v_add_f64 v[172:173], v[0:1], v[2:3]
	v_fma_f64 v[0:1], v[14:15], s[20:21], v[174:175]
	v_add_f64 v[168:169], v[168:169], v[182:183]
	v_add_f64 v[174:175], v[0:1], v[190:191]
	v_mul_f64 v[0:1], v[16:17], s[58:59]
	v_fma_f64 v[2:3], v[251:252], s[8:9], v[0:1]
	v_fma_f64 v[0:1], v[251:252], s[8:9], -v[0:1]
	v_add_f64 v[176:177], v[2:3], v[176:177]
	v_mul_f64 v[2:3], v[12:13], s[8:9]
	v_add_f64 v[180:181], v[0:1], v[180:181]
	v_fma_f64 v[182:183], v[14:15], s[16:17], v[2:3]
	v_fma_f64 v[0:1], v[14:15], s[58:59], v[2:3]
	v_add_f64 v[178:179], v[182:183], v[178:179]
	v_add_f64 v[182:183], v[0:1], v[34:35]
	s_and_saveexec_b64 s[62:63], s[0:1]
	s_cbranch_execz .LBB0_17
; %bb.16:
	buffer_store_dword v20, off, s[64:67], 0 offset:464 ; 4-byte Folded Spill
	s_nop 0
	buffer_store_dword v21, off, s[64:67], 0 offset:468 ; 4-byte Folded Spill
	buffer_load_dword v20, off, s[64:67], 0 offset:376 ; 4-byte Folded Reload
	s_nop 0
	buffer_load_dword v21, off, s[64:67], 0 offset:380 ; 4-byte Folded Reload
	v_mul_f64 v[34:35], v[225:226], s[28:29]
	v_mul_f64 v[0:1], v[14:15], s[50:51]
	;; [unrolled: 1-line block ×5, first 2 shown]
	v_add_f64 v[0:1], v[192:193], -v[0:1]
	v_mul_f64 v[192:193], v[211:212], s[46:47]
	v_add_f64 v[2:3], v[32:33], -v[2:3]
	v_mul_f64 v[32:33], v[253:254], s[54:55]
	v_add_f64 v[192:193], v[209:210], -v[192:193]
	v_mov_b32_e32 v210, v75
	v_mov_b32_e32 v209, v74
	v_add_f64 v[22:23], v[22:23], -v[32:33]
	v_mul_f64 v[32:33], v[235:236], s[58:59]
	v_add_f64 v[32:33], v[199:200], -v[32:33]
	v_mov_b32_e32 v200, v43
	v_mov_b32_e32 v199, v42
	v_mul_f64 v[42:43], v[253:254], s[28:29]
	s_waitcnt vmcnt(0)
	v_add_f64 v[34:35], v[20:21], -v[34:35]
	buffer_load_dword v20, off, s[64:67], 0 offset:288 ; 4-byte Folded Reload
	buffer_load_dword v21, off, s[64:67], 0 offset:292 ; 4-byte Folded Reload
	s_nop 0
	buffer_store_dword v219, off, s[64:67], 0 offset:472 ; 4-byte Folded Spill
	s_nop 0
	buffer_store_dword v220, off, s[64:67], 0 offset:476 ; 4-byte Folded Spill
	v_mov_b32_e32 v220, v25
	v_mov_b32_e32 v219, v24
	buffer_load_dword v24, off, s[64:67], 0 offset:264 ; 4-byte Folded Reload
	buffer_load_dword v25, off, s[64:67], 0 offset:268 ; 4-byte Folded Reload
	s_nop 0
	buffer_store_dword v66, off, s[64:67], 0 offset:264 ; 4-byte Folded Spill
	s_nop 0
	buffer_store_dword v67, off, s[64:67], 0 offset:268 ; 4-byte Folded Spill
	buffer_store_dword v68, off, s[64:67], 0 offset:272 ; 4-byte Folded Spill
	;; [unrolled: 1-line block ×3, first 2 shown]
	s_waitcnt vmcnt(8)
	v_add_f64 v[190:191], v[20:21], -v[190:191]
	v_mov_b32_e32 v20, v76
	v_mov_b32_e32 v21, v77
	v_mov_b32_e32 v77, v7
	v_mov_b32_e32 v76, v6
	v_mov_b32_e32 v75, v5
	v_mov_b32_e32 v74, v4
	v_mul_f64 v[6:7], v[251:252], s[34:35]
	v_mul_f64 v[4:5], v[203:204], s[24:25]
	v_add_f64 v[6:7], v[6:7], v[18:19]
	v_mul_f64 v[18:19], v[237:238], s[26:27]
	v_add_f64 v[4:5], v[48:49], -v[4:5]
	v_mov_b32_e32 v48, v188
	v_mov_b32_e32 v49, v189
	v_mul_f64 v[188:189], v[217:218], s[56:57]
	v_add_f64 v[18:19], v[18:19], v[30:31]
	v_mul_f64 v[30:31], v[213:214], s[38:39]
	v_add_f64 v[4:5], v[114:115], v[4:5]
	s_waitcnt vmcnt(4)
	v_add_f64 v[30:31], v[30:31], v[24:25]
	buffer_load_dword v24, off, s[64:67], 0 offset:336 ; 4-byte Folded Reload
	buffer_load_dword v25, off, s[64:67], 0 offset:340 ; 4-byte Folded Reload
	v_add_f64 v[4:5], v[192:193], v[4:5]
	v_mul_f64 v[192:193], v[197:198], s[18:19]
	v_add_f64 v[4:5], v[190:191], v[4:5]
	v_add_f64 v[192:193], v[192:193], v[64:65]
	v_mov_b32_e32 v67, v11
	v_mov_b32_e32 v66, v10
	;; [unrolled: 1-line block ×4, first 2 shown]
	v_mul_f64 v[8:9], v[205:206], s[10:11]
	v_mul_f64 v[190:191], v[245:246], s[44:45]
	v_add_f64 v[4:5], v[34:35], v[4:5]
	v_add_f64 v[10:11], v[112:113], v[192:193]
	v_mul_f64 v[34:35], v[203:204], s[20:21]
	v_mul_f64 v[192:193], v[197:198], s[8:9]
	v_add_f64 v[8:9], v[8:9], v[52:53]
	v_add_f64 v[186:187], v[190:191], v[186:187]
	v_mul_f64 v[190:191], v[211:212], s[42:43]
	v_add_f64 v[4:5], v[32:33], v[4:5]
	v_mul_f64 v[32:33], v[203:204], s[16:17]
	;; [unrolled: 2-line block ×3, first 2 shown]
	v_add_f64 v[190:191], v[20:21], -v[190:191]
	v_add_f64 v[4:5], v[22:23], v[4:5]
	v_mul_f64 v[22:23], v[211:212], s[30:31]
	v_add_f64 v[8:9], v[30:31], v[8:9]
	v_mul_f64 v[30:31], v[229:230], s[8:9]
	v_add_f64 v[2:3], v[2:3], v[4:5]
	v_add_f64 v[22:23], v[48:49], -v[22:23]
	v_mul_f64 v[4:5], v[235:236], s[30:31]
	v_add_f64 v[30:31], v[30:31], v[184:185]
	v_mul_f64 v[184:185], v[213:214], s[10:11]
	s_waitcnt vmcnt(0)
	v_add_f64 v[10:11], v[10:11], v[24:25]
	buffer_load_dword v24, off, s[64:67], 0 offset:432 ; 4-byte Folded Reload
	buffer_load_dword v25, off, s[64:67], 0 offset:436 ; 4-byte Folded Reload
	v_add_f64 v[8:9], v[10:11], v[8:9]
	v_mul_f64 v[10:11], v[225:226], s[36:37]
	v_add_f64 v[8:9], v[30:31], v[8:9]
	v_mul_f64 v[30:31], v[197:198], s[10:11]
	;; [unrolled: 2-line block ×3, first 2 shown]
	v_add_f64 v[8:9], v[18:19], v[8:9]
	v_add_f64 v[186:187], v[186:187], v[207:208]
	v_mul_f64 v[18:19], v[217:218], s[46:47]
	v_add_f64 v[18:19], v[54:55], -v[18:19]
	s_waitcnt vmcnt(0)
	v_add_f64 v[34:35], v[24:25], -v[34:35]
	buffer_load_dword v24, off, s[64:67], 0 offset:312 ; 4-byte Folded Reload
	buffer_load_dword v25, off, s[64:67], 0 offset:316 ; 4-byte Folded Reload
	;; [unrolled: 1-line block ×4, first 2 shown]
	v_add_f64 v[34:35], v[114:115], v[34:35]
	v_add_f64 v[34:35], v[190:191], v[34:35]
	v_mul_f64 v[190:191], v[253:254], s[58:59]
	v_add_f64 v[190:191], v[201:202], -v[190:191]
	v_mul_f64 v[201:202], v[225:226], s[52:53]
	s_waitcnt vmcnt(2)
	v_add_f64 v[10:11], v[24:25], -v[10:11]
	s_waitcnt vmcnt(0)
	v_add_f64 v[188:189], v[20:21], -v[188:189]
	buffer_load_dword v20, off, s[64:67], 0 offset:408 ; 4-byte Folded Reload
	buffer_load_dword v21, off, s[64:67], 0 offset:412 ; 4-byte Folded Reload
	buffer_load_dword v24, off, s[64:67], 0 offset:416 ; 4-byte Folded Reload
	buffer_load_dword v25, off, s[64:67], 0 offset:420 ; 4-byte Folded Reload
	s_nop 0
	buffer_store_dword v82, off, s[64:67], 0 offset:312 ; 4-byte Folded Spill
	s_nop 0
	buffer_store_dword v83, off, s[64:67], 0 offset:316 ; 4-byte Folded Spill
	buffer_store_dword v84, off, s[64:67], 0 offset:320 ; 4-byte Folded Spill
	buffer_store_dword v85, off, s[64:67], 0 offset:324 ; 4-byte Folded Spill
	buffer_store_dword v86, off, s[64:67], 0 offset:288 ; 4-byte Folded Spill
	s_nop 0
	buffer_store_dword v87, off, s[64:67], 0 offset:292 ; 4-byte Folded Spill
	buffer_store_dword v88, off, s[64:67], 0 offset:296 ; 4-byte Folded Spill
	buffer_store_dword v89, off, s[64:67], 0 offset:300 ; 4-byte Folded Spill
	buffer_store_dword v94, off, s[64:67], 0 offset:336 ; 4-byte Folded Spill
	s_nop 0
	buffer_store_dword v95, off, s[64:67], 0 offset:340 ; 4-byte Folded Spill
	buffer_store_dword v96, off, s[64:67], 0 offset:344 ; 4-byte Folded Spill
	buffer_store_dword v97, off, s[64:67], 0 offset:348 ; 4-byte Folded Spill
	buffer_store_dword v70, off, s[64:67], 0 offset:376 ; 4-byte Folded Spill
	s_nop 0
	buffer_store_dword v71, off, s[64:67], 0 offset:380 ; 4-byte Folded Spill
	buffer_store_dword v72, off, s[64:67], 0 offset:384 ; 4-byte Folded Spill
	buffer_store_dword v73, off, s[64:67], 0 offset:388 ; 4-byte Folded Spill
	v_mov_b32_e32 v71, v39
	v_mov_b32_e32 v70, v38
	;; [unrolled: 1-line block ×4, first 2 shown]
	buffer_load_dword v38, off, s[64:67], 0 offset:232 ; 4-byte Folded Reload
	buffer_load_dword v39, off, s[64:67], 0 offset:236 ; 4-byte Folded Reload
	;; [unrolled: 1-line block ×4, first 2 shown]
	v_add_f64 v[34:35], v[188:189], v[34:35]
	v_mov_b32_e32 v84, v90
	v_mov_b32_e32 v85, v91
	;; [unrolled: 1-line block ×7, first 2 shown]
	v_add_f64 v[10:11], v[10:11], v[34:35]
	v_mul_f64 v[34:35], v[235:236], s[36:37]
	v_mov_b32_e32 v88, v78
	v_mov_b32_e32 v81, v47
	;; [unrolled: 1-line block ×5, first 2 shown]
	v_mul_f64 v[46:47], v[243:244], s[60:61]
	v_mul_f64 v[188:189], v[221:222], s[38:39]
	;; [unrolled: 1-line block ×3, first 2 shown]
	v_mov_b32_e32 v97, v41
	v_mov_b32_e32 v96, v40
	v_mul_f64 v[40:41], v[245:246], s[22:23]
	v_mul_f64 v[44:45], v[237:238], s[18:19]
	v_mov_b32_e32 v95, v59
	v_mov_b32_e32 v94, v58
	;; [unrolled: 1-line block ×4, first 2 shown]
	v_mul_f64 v[56:57], v[16:17], s[52:53]
	s_waitcnt vmcnt(22)
	v_add_f64 v[30:31], v[30:31], v[20:21]
	v_mul_f64 v[20:21], v[213:214], s[44:45]
	s_waitcnt vmcnt(20)
	v_add_f64 v[4:5], v[24:25], -v[4:5]
	v_mul_f64 v[24:25], v[221:222], s[34:35]
	s_waitcnt vmcnt(0)
	v_add_f64 v[32:33], v[52:53], -v[32:33]
	buffer_load_dword v52, off, s[64:67], 0 offset:280 ; 4-byte Folded Reload
	buffer_load_dword v53, off, s[64:67], 0 offset:284 ; 4-byte Folded Reload
	;; [unrolled: 1-line block ×4, first 2 shown]
	v_add_f64 v[30:31], v[112:113], v[30:31]
	v_add_f64 v[20:21], v[20:21], v[38:39]
	v_mul_f64 v[38:39], v[229:230], s[26:27]
	buffer_store_dword v50, off, s[64:67], 0 offset:232 ; 4-byte Folded Spill
	buffer_store_dword v51, off, s[64:67], 0 offset:240 ; 4-byte Folded Spill
	v_add_f64 v[4:5], v[4:5], v[10:11]
	v_add_f64 v[32:33], v[114:115], v[32:33]
	v_mul_f64 v[10:11], v[245:246], s[8:9]
	v_mul_f64 v[50:51], v[251:252], s[44:45]
	v_add_f64 v[30:31], v[186:187], v[30:31]
	v_add_f64 v[186:187], v[0:1], v[2:3]
	v_add_f64 v[4:5], v[190:191], v[4:5]
	v_add_f64 v[22:23], v[22:23], v[32:33]
	v_mul_f64 v[32:33], v[14:15], s[56:57]
	v_add_f64 v[20:21], v[20:21], v[30:31]
	v_mul_f64 v[30:31], v[237:238], s[38:39]
	v_add_f64 v[18:19], v[18:19], v[22:23]
	s_waitcnt vmcnt(4)
	v_add_f64 v[24:25], v[24:25], v[52:53]
	s_waitcnt vmcnt(2)
	v_add_f64 v[38:39], v[38:39], v[48:49]
	buffer_load_dword v52, off, s[64:67], 0 offset:400 ; 4-byte Folded Reload
	buffer_load_dword v53, off, s[64:67], 0 offset:404 ; 4-byte Folded Reload
	;; [unrolled: 1-line block ×8, first 2 shown]
	v_mul_f64 v[48:49], v[243:244], s[40:41]
	v_add_f64 v[20:21], v[24:25], v[20:21]
	v_mul_f64 v[24:25], v[251:252], s[18:19]
	v_add_f64 v[20:21], v[38:39], v[20:21]
	buffer_load_dword v38, off, s[64:67], 0 offset:448 ; 4-byte Folded Reload
	buffer_load_dword v39, off, s[64:67], 0 offset:452 ; 4-byte Folded Reload
	s_waitcnt vmcnt(8)
	v_add_f64 v[10:11], v[10:11], v[52:53]
	v_mul_f64 v[52:53], v[14:15], s[24:25]
	s_waitcnt vmcnt(6)
	v_add_f64 v[0:1], v[0:1], -v[201:202]
	s_waitcnt vmcnt(2)
	v_add_f64 v[22:23], v[22:23], -v[48:49]
	v_add_f64 v[2:3], v[192:193], v[2:3]
	v_add_f64 v[10:11], v[10:11], v[20:21]
	v_add_f64 v[20:21], v[24:25], v[26:27]
	v_add_f64 v[0:1], v[0:1], v[18:19]
	v_add_f64 v[18:19], v[28:29], -v[52:53]
	v_add_f64 v[4:5], v[22:23], v[4:5]
	v_add_f64 v[24:25], v[184:185], v[209:210]
	;; [unrolled: 1-line block ×3, first 2 shown]
	s_waitcnt vmcnt(0)
	v_add_f64 v[30:31], v[30:31], v[38:39]
	buffer_load_dword v38, off, s[64:67], 0 offset:328 ; 4-byte Folded Reload
	buffer_load_dword v39, off, s[64:67], 0 offset:332 ; 4-byte Folded Reload
	buffer_load_dword v22, off, s[64:67], 0 offset:392 ; 4-byte Folded Reload
	buffer_load_dword v23, off, s[64:67], 0 offset:396 ; 4-byte Folded Reload
	v_add_f64 v[2:3], v[112:113], v[2:3]
	v_mul_f64 v[8:9], v[203:204], s[36:37]
	v_add_f64 v[190:191], v[18:19], v[4:5]
	buffer_load_dword v4, off, s[64:67], 0 offset:440 ; 4-byte Folded Reload
	buffer_load_dword v5, off, s[64:67], 0 offset:444 ; 4-byte Folded Reload
	;; [unrolled: 1-line block ×6, first 2 shown]
	v_add_f64 v[10:11], v[30:31], v[10:11]
	v_mul_f64 v[28:29], v[217:218], s[48:49]
	s_waitcnt vmcnt(8)
	v_add_f64 v[34:35], v[38:39], -v[34:35]
	s_waitcnt vmcnt(6)
	v_add_f64 v[22:23], v[22:23], -v[42:43]
	v_add_f64 v[38:39], v[194:195], v[60:61]
	s_waitcnt vmcnt(4)
	v_add_f64 v[4:5], v[4:5], -v[46:47]
	s_waitcnt vmcnt(2)
	v_add_f64 v[6:7], v[188:189], v[6:7]
	s_waitcnt vmcnt(0)
	v_add_f64 v[18:19], v[36:37], v[18:19]
	v_add_f64 v[0:1], v[34:35], v[0:1]
	;; [unrolled: 1-line block ×4, first 2 shown]
	v_mul_f64 v[20:21], v[211:212], s[24:25]
	v_mul_f64 v[36:37], v[225:226], s[46:47]
	v_fma_f64 v[38:39], v[215:216], s[26:27], v[28:29]
	v_fma_f64 v[28:29], v[215:216], s[26:27], -v[28:29]
	v_add_f64 v[10:11], v[219:220], -v[32:33]
	v_add_f64 v[0:1], v[22:23], v[0:1]
	v_mul_f64 v[22:23], v[96:97], s[36:37]
	v_add_f64 v[2:3], v[24:25], v[2:3]
	v_fma_f64 v[24:25], v[62:63], s[34:35], v[8:9]
	v_fma_f64 v[8:9], v[62:63], s[34:35], -v[8:9]
	v_fma_f64 v[30:31], v[110:111], s[18:19], v[20:21]
	v_fma_f64 v[20:21], v[110:111], s[18:19], -v[20:21]
	v_add_f64 v[0:1], v[4:5], v[0:1]
	buffer_load_dword v4, off, s[64:67], 0 offset:368 ; 4-byte Folded Reload
	buffer_load_dword v5, off, s[64:67], 0 offset:372 ; 4-byte Folded Reload
	v_add_f64 v[2:3], v[6:7], v[2:3]
	v_mul_f64 v[6:7], v[199:200], s[24:25]
	v_add_f64 v[8:9], v[114:115], v[8:9]
	v_fma_f64 v[26:27], v[197:198], s[34:35], -v[22:23]
	v_add_f64 v[24:25], v[114:115], v[24:25]
	v_add_f64 v[2:3], v[18:19], v[2:3]
	buffer_load_dword v18, off, s[64:67], 0 offset:424 ; 4-byte Folded Reload
	buffer_load_dword v19, off, s[64:67], 0 offset:428 ; 4-byte Folded Reload
	buffer_load_dword v54, off, s[64:67], 0 offset:472 ; 4-byte Folded Reload
	buffer_load_dword v55, off, s[64:67], 0 offset:476 ; 4-byte Folded Reload
	v_add_f64 v[8:9], v[20:21], v[8:9]
	v_fma_f64 v[34:35], v[205:206], s[18:19], -v[6:7]
	v_add_f64 v[26:27], v[112:113], v[26:27]
	v_add_f64 v[24:25], v[30:31], v[24:25]
	v_fma_f64 v[6:7], v[205:206], s[18:19], v[6:7]
	v_add_f64 v[8:9], v[28:29], v[8:9]
	v_mul_f64 v[28:29], v[14:15], s[28:29]
	v_add_f64 v[26:27], v[34:35], v[26:27]
	v_mul_f64 v[34:35], v[235:236], s[56:57]
	;; [unrolled: 2-line block ×3, first 2 shown]
	v_fma_f64 v[46:47], v[229:230], s[44:45], -v[38:39]
	s_waitcnt vmcnt(4)
	v_add_f64 v[4:5], v[40:41], v[4:5]
	v_fma_f64 v[40:41], v[223:224], s[10:11], v[36:37]
	v_fma_f64 v[36:37], v[223:224], s[10:11], -v[36:37]
	v_add_f64 v[2:3], v[4:5], v[2:3]
	v_mul_f64 v[4:5], v[227:228], s[46:47]
	v_add_f64 v[8:9], v[36:37], v[8:9]
	buffer_load_dword v36, off, s[64:67], 0 offset:464 ; 4-byte Folded Reload
	buffer_load_dword v37, off, s[64:67], 0 offset:468 ; 4-byte Folded Reload
	s_waitcnt vmcnt(2)
	v_mul_f64 v[32:33], v[54:55], s[48:49]
	v_add_f64 v[18:19], v[44:45], v[18:19]
	v_fma_f64 v[44:45], v[231:232], s[44:45], v[34:35]
	v_add_f64 v[24:25], v[40:41], v[24:25]
	v_mul_f64 v[40:41], v[233:234], s[40:41]
	v_fma_f64 v[42:43], v[221:222], s[10:11], -v[4:5]
	v_fma_f64 v[34:35], v[231:232], s[44:45], -v[34:35]
	v_fma_f64 v[4:5], v[221:222], s[10:11], v[4:5]
	v_fma_f64 v[30:31], v[213:214], s[26:27], -v[32:33]
	v_add_f64 v[2:3], v[18:19], v[2:3]
	v_mov_b32_e32 v61, v55
	v_add_f64 v[24:25], v[44:45], v[24:25]
	v_mul_f64 v[44:45], v[249:250], s[16:17]
	v_fma_f64 v[48:49], v[245:246], s[38:39], -v[40:41]
	v_add_f64 v[8:9], v[34:35], v[8:9]
	v_fma_f64 v[40:41], v[245:246], s[38:39], v[40:41]
	v_add_f64 v[26:27], v[30:31], v[26:27]
	v_mul_f64 v[30:31], v[253:254], s[40:41]
	v_mov_b32_e32 v60, v54
	v_fma_f64 v[52:53], v[237:238], s[8:9], -v[44:45]
	v_fma_f64 v[44:45], v[237:238], s[8:9], v[44:45]
	v_add_f64 v[20:21], v[42:43], v[26:27]
	v_mul_f64 v[26:27], v[243:244], s[16:17]
	v_fma_f64 v[42:43], v[247:248], s[38:39], v[30:31]
	v_fma_f64 v[30:31], v[247:248], s[38:39], -v[30:31]
	v_add_f64 v[20:21], v[46:47], v[20:21]
	v_fma_f64 v[46:47], v[239:240], s[8:9], v[26:27]
	v_add_f64 v[24:25], v[42:43], v[24:25]
	v_mul_f64 v[42:43], v[16:17], s[28:29]
	v_add_f64 v[8:9], v[30:31], v[8:9]
	v_mul_f64 v[30:31], v[199:200], s[16:17]
	v_mul_f64 v[16:17], v[16:17], s[30:31]
	v_add_f64 v[20:21], v[48:49], v[20:21]
	v_fma_f64 v[48:49], v[12:13], s[22:23], v[28:29]
	v_add_f64 v[24:25], v[46:47], v[24:25]
	v_fma_f64 v[46:47], v[251:252], s[22:23], -v[42:43]
	v_fma_f64 v[42:43], v[251:252], s[22:23], v[42:43]
	v_add_f64 v[34:35], v[52:53], v[20:21]
	v_add_f64 v[20:21], v[10:11], v[0:1]
	v_fma_f64 v[0:1], v[197:198], s[34:35], v[22:23]
	v_mul_f64 v[10:11], v[203:204], s[54:55]
	v_add_f64 v[194:195], v[48:49], v[24:25]
	v_fma_f64 v[22:23], v[12:13], s[22:23], -v[28:29]
	v_mul_f64 v[28:29], v[211:212], s[16:17]
	v_add_f64 v[192:193], v[46:47], v[34:35]
	v_fma_f64 v[46:47], v[205:206], s[8:9], -v[30:31]
	v_add_f64 v[0:1], v[112:113], v[0:1]
	v_fma_f64 v[24:25], v[62:63], s[44:45], v[10:11]
	v_fma_f64 v[10:11], v[62:63], s[44:45], -v[10:11]
	v_fma_f64 v[30:31], v[205:206], s[8:9], v[30:31]
	v_fma_f64 v[34:35], v[110:111], s[8:9], v[28:29]
	v_add_f64 v[0:1], v[6:7], v[0:1]
	v_mul_f64 v[6:7], v[217:218], s[24:25]
	v_add_f64 v[24:25], v[114:115], v[24:25]
	v_add_f64 v[10:11], v[114:115], v[10:11]
	v_fma_f64 v[48:49], v[215:216], s[18:19], v[6:7]
	v_add_f64 v[24:25], v[34:35], v[24:25]
	v_fma_f64 v[34:35], v[229:230], s[44:45], v[38:39]
	v_mul_f64 v[38:39], v[227:228], s[30:31]
	s_waitcnt vmcnt(0)
	v_add_f64 v[36:37], v[50:51], v[36:37]
	v_fma_f64 v[6:7], v[215:216], s[18:19], -v[6:7]
	v_add_f64 v[24:25], v[48:49], v[24:25]
	v_mul_f64 v[48:49], v[241:242], s[42:43]
	v_fma_f64 v[52:53], v[221:222], s[26:27], -v[38:39]
	v_add_f64 v[18:19], v[36:37], v[2:3]
	v_fma_f64 v[2:3], v[239:240], s[8:9], -v[26:27]
	v_mul_f64 v[26:27], v[96:97], s[54:55]
	v_mul_f64 v[36:37], v[54:55], s[24:25]
	v_fma_f64 v[54:55], v[229:230], s[22:23], -v[48:49]
	v_add_f64 v[2:3], v[2:3], v[8:9]
	v_fma_f64 v[8:9], v[213:214], s[26:27], v[32:33]
	v_fma_f64 v[32:33], v[197:198], s[44:45], -v[26:27]
	v_fma_f64 v[50:51], v[213:214], s[18:19], -v[36:37]
	v_fma_f64 v[26:27], v[197:198], s[44:45], v[26:27]
	v_add_f64 v[0:1], v[8:9], v[0:1]
	v_add_f64 v[32:33], v[112:113], v[32:33]
	v_mul_f64 v[8:9], v[225:226], s[30:31]
	v_add_f64 v[26:27], v[112:113], v[26:27]
	v_add_f64 v[0:1], v[4:5], v[0:1]
	;; [unrolled: 1-line block ×3, first 2 shown]
	v_mul_f64 v[4:5], v[235:236], s[42:43]
	v_fma_f64 v[46:47], v[223:224], s[26:27], v[8:9]
	v_fma_f64 v[8:9], v[223:224], s[26:27], -v[8:9]
	v_add_f64 v[26:27], v[30:31], v[26:27]
	v_mul_f64 v[30:31], v[217:218], s[36:37]
	v_add_f64 v[0:1], v[34:35], v[0:1]
	v_add_f64 v[32:33], v[50:51], v[32:33]
	v_mul_f64 v[34:35], v[253:254], s[46:47]
	v_fma_f64 v[50:51], v[231:232], s[22:23], v[4:5]
	v_add_f64 v[24:25], v[46:47], v[24:25]
	v_mul_f64 v[46:47], v[233:234], s[46:47]
	v_fma_f64 v[4:5], v[231:232], s[22:23], -v[4:5]
	v_add_f64 v[0:1], v[40:41], v[0:1]
	v_add_f64 v[32:33], v[52:53], v[32:33]
	v_fma_f64 v[52:53], v[247:248], s[10:11], v[34:35]
	v_mul_f64 v[40:41], v[243:244], s[50:51]
	v_add_f64 v[24:25], v[50:51], v[24:25]
	v_mul_f64 v[50:51], v[249:250], s[50:51]
	v_fma_f64 v[201:202], v[245:246], s[10:11], -v[46:47]
	v_add_f64 v[0:1], v[44:45], v[0:1]
	v_mul_f64 v[44:45], v[14:15], s[52:53]
	v_add_f64 v[32:33], v[54:55], v[32:33]
	v_fma_f64 v[54:55], v[239:240], s[34:35], v[40:41]
	v_add_f64 v[52:53], v[52:53], v[24:25]
	v_add_f64 v[24:25], v[22:23], v[2:3]
	v_fma_f64 v[2:3], v[110:111], s[8:9], -v[28:29]
	v_fma_f64 v[58:59], v[237:238], s[34:35], -v[50:51]
	v_add_f64 v[22:23], v[42:43], v[0:1]
	v_fma_f64 v[0:1], v[12:13], s[38:39], v[44:45]
	v_fma_f64 v[28:29], v[12:13], s[38:39], -v[44:45]
	v_mul_f64 v[44:45], v[203:204], s[40:41]
	v_add_f64 v[32:33], v[201:202], v[32:33]
	v_add_f64 v[42:43], v[54:55], v[52:53]
	;; [unrolled: 1-line block ×3, first 2 shown]
	v_fma_f64 v[10:11], v[247:248], s[10:11], -v[34:35]
	v_mul_f64 v[34:35], v[211:212], s[54:55]
	v_fma_f64 v[40:41], v[239:240], s[34:35], -v[40:41]
	v_fma_f64 v[52:53], v[251:252], s[38:39], -v[56:57]
	v_fma_f64 v[54:55], v[62:63], s[38:39], v[44:45]
	v_add_f64 v[32:33], v[58:59], v[32:33]
	v_add_f64 v[58:59], v[112:113], v[116:117]
	;; [unrolled: 1-line block ×3, first 2 shown]
	v_fma_f64 v[6:7], v[213:214], s[18:19], v[36:37]
	v_add_f64 v[36:37], v[114:115], v[118:119]
	v_fma_f64 v[116:117], v[110:111], s[44:45], v[34:35]
	v_fma_f64 v[44:45], v[62:63], s[38:39], -v[44:45]
	v_add_f64 v[54:55], v[114:115], v[54:55]
	v_fma_f64 v[34:35], v[110:111], s[44:45], -v[34:35]
	v_add_f64 v[2:3], v[8:9], v[2:3]
	v_fma_f64 v[8:9], v[221:222], s[26:27], v[38:39]
	v_add_f64 v[36:37], v[36:37], v[122:123]
	v_add_f64 v[38:39], v[58:59], v[120:121]
	v_add_f64 v[6:7], v[6:7], v[26:27]
	v_mul_f64 v[26:27], v[225:226], s[16:17]
	v_fma_f64 v[58:59], v[215:216], s[34:35], v[30:31]
	v_add_f64 v[54:55], v[116:117], v[54:55]
	v_add_f64 v[2:3], v[4:5], v[2:3]
	v_fma_f64 v[4:5], v[229:230], s[22:23], v[48:49]
	v_add_f64 v[36:37], v[36:37], v[134:135]
	v_add_f64 v[38:39], v[38:39], v[132:133]
	v_add_f64 v[6:7], v[8:9], v[6:7]
	v_mul_f64 v[8:9], v[235:236], s[20:21]
	v_fma_f64 v[48:49], v[223:224], s[8:9], v[26:27]
	v_add_f64 v[54:55], v[58:59], v[54:55]
	;; [unrolled: 8-line block ×3, first 2 shown]
	v_add_f64 v[2:3], v[40:41], v[2:3]
	v_fma_f64 v[40:41], v[237:238], s[34:35], v[50:51]
	v_add_f64 v[36:37], v[36:37], v[146:147]
	v_add_f64 v[38:39], v[38:39], v[144:145]
	;; [unrolled: 1-line block ×3, first 2 shown]
	v_fma_f64 v[50:51], v[247:248], s[18:19], v[6:7]
	v_mul_f64 v[116:117], v[199:200], s[54:55]
	v_add_f64 v[46:47], v[46:47], v[48:49]
	v_add_f64 v[28:29], v[28:29], v[2:3]
	;; [unrolled: 1-line block ×6, first 2 shown]
	v_mul_f64 v[120:121], v[60:61], s[36:37]
	v_fma_f64 v[114:115], v[205:206], s[44:45], v[116:117]
	v_add_f64 v[40:41], v[50:51], v[46:47]
	v_mul_f64 v[50:51], v[96:97], s[40:41]
	v_fma_f64 v[116:117], v[205:206], s[44:45], -v[116:117]
	v_add_f64 v[2:3], v[2:3], v[150:151]
	v_add_f64 v[36:37], v[36:37], v[148:149]
	v_fma_f64 v[30:31], v[215:216], s[34:35], -v[30:31]
	v_add_f64 v[34:35], v[34:35], v[44:45]
	v_mul_f64 v[58:59], v[227:228], s[16:17]
	v_fma_f64 v[44:45], v[213:214], s[34:35], v[120:121]
	v_fma_f64 v[118:119], v[197:198], s[38:39], v[50:51]
	v_fma_f64 v[50:51], v[197:198], s[38:39], -v[50:51]
	v_add_f64 v[2:3], v[2:3], v[138:139]
	v_add_f64 v[36:37], v[36:37], v[136:137]
	v_fma_f64 v[26:27], v[223:224], s[8:9], -v[26:27]
	v_add_f64 v[30:31], v[30:31], v[34:35]
	v_fma_f64 v[48:49], v[251:252], s[38:39], v[56:57]
	v_mul_f64 v[56:57], v[241:242], s[20:21]
	v_add_f64 v[118:119], v[112:113], v[118:119]
	v_add_f64 v[50:51], v[112:113], v[50:51]
	;; [unrolled: 1-line block ×4, first 2 shown]
	v_fma_f64 v[34:35], v[221:222], s[8:9], v[58:59]
	v_fma_f64 v[58:59], v[221:222], s[8:9], -v[58:59]
	v_fma_f64 v[8:9], v[231:232], s[10:11], -v[8:9]
	v_add_f64 v[26:27], v[26:27], v[30:31]
	v_add_f64 v[112:113], v[114:115], v[118:119]
	v_fma_f64 v[114:115], v[213:214], s[34:35], -v[120:121]
	v_add_f64 v[50:51], v[116:117], v[50:51]
	v_add_f64 v[2:3], v[2:3], v[126:127]
	;; [unrolled: 1-line block ×3, first 2 shown]
	v_mul_f64 v[10:11], v[243:244], s[28:29]
	v_mul_f64 v[54:55], v[233:234], s[24:25]
	v_fma_f64 v[30:31], v[229:230], s[10:11], v[56:57]
	v_add_f64 v[44:45], v[44:45], v[112:113]
	v_fma_f64 v[6:7], v[247:248], s[18:19], -v[6:7]
	v_add_f64 v[50:51], v[114:115], v[50:51]
	v_add_f64 v[2:3], v[2:3], v[100:101]
	;; [unrolled: 1-line block ×4, first 2 shown]
	v_mul_f64 v[4:5], v[14:15], s[30:31]
	v_fma_f64 v[14:15], v[239:240], s[22:23], v[10:11]
	v_add_f64 v[34:35], v[34:35], v[44:45]
	v_fma_f64 v[44:45], v[229:230], s[10:11], -v[56:57]
	v_add_f64 v[50:51], v[58:59], v[50:51]
	v_add_f64 v[2:3], v[2:3], v[104:105]
	v_mul_f64 v[46:47], v[249:250], s[28:29]
	v_fma_f64 v[26:27], v[245:246], s[18:19], v[54:55]
	v_fma_f64 v[10:11], v[239:240], s[22:23], -v[10:11]
	v_add_f64 v[6:7], v[6:7], v[8:9]
	v_add_f64 v[30:31], v[30:31], v[34:35]
	v_fma_f64 v[34:35], v[245:246], s[18:19], -v[54:55]
	v_add_f64 v[44:45], v[44:45], v[50:51]
	v_add_f64 v[36:37], v[36:37], v[102:103]
	;; [unrolled: 1-line block ×3, first 2 shown]
	v_fma_f64 v[8:9], v[237:238], s[22:23], v[46:47]
	v_add_f64 v[14:15], v[14:15], v[40:41]
	v_add_f64 v[6:7], v[10:11], v[6:7]
	;; [unrolled: 1-line block ×3, first 2 shown]
	v_fma_f64 v[30:31], v[237:238], s[22:23], -v[46:47]
	v_add_f64 v[34:35], v[34:35], v[44:45]
	v_fma_f64 v[44:45], v[12:13], s[26:27], -v[4:5]
	v_fma_f64 v[46:47], v[12:13], s[26:27], v[4:5]
	v_add_f64 v[36:37], v[36:37], v[106:107]
	v_add_f64 v[2:3], v[2:3], v[70:71]
	v_fma_f64 v[10:11], v[251:252], s[26:27], v[16:17]
	v_fma_f64 v[40:41], v[251:252], s[26:27], -v[16:17]
	v_mov_b32_e32 v56, v92
	v_mov_b32_e32 v57, v93
	v_add_f64 v[4:5], v[44:45], v[6:7]
	v_add_f64 v[16:17], v[46:47], v[14:15]
	v_mov_b32_e32 v44, v78
	v_mov_b32_e32 v45, v79
	;; [unrolled: 1-line block ×11, first 2 shown]
	buffer_load_dword v51, off, s[64:67], 0 offset:240 ; 4-byte Folded Reload
	buffer_load_dword v50, off, s[64:67], 0 offset:232 ; 4-byte Folded Reload
	v_add_f64 v[36:37], v[36:37], v[68:69]
	v_add_f64 v[2:3], v[2:3], v[66:67]
	buffer_load_dword v66, off, s[64:67], 0 offset:264 ; 4-byte Folded Reload
	buffer_load_dword v67, off, s[64:67], 0 offset:268 ; 4-byte Folded Reload
	;; [unrolled: 1-line block ×4, first 2 shown]
	v_add_f64 v[12:13], v[0:1], v[42:43]
	v_mov_b32_e32 v92, v86
	v_mov_b32_e32 v91, v85
	;; [unrolled: 1-line block ×3, first 2 shown]
	buffer_load_dword v70, off, s[64:67], 0 offset:376 ; 4-byte Folded Reload
	buffer_load_dword v71, off, s[64:67], 0 offset:380 ; 4-byte Folded Reload
	;; [unrolled: 1-line block ×17, first 2 shown]
	v_add_f64 v[36:37], v[36:37], v[64:65]
	v_add_f64 v[26:27], v[8:9], v[26:27]
	;; [unrolled: 1-line block ×9, first 2 shown]
	s_waitcnt vmcnt(0)
	v_lshlrev_b32_e32 v0, 4, v0
	ds_write_b128 v0, v[6:9]
	ds_write_b128 v0, v[2:5] offset:16
	ds_write_b128 v0, v[26:29] offset:32
	;; [unrolled: 1-line block ×14, first 2 shown]
	buffer_load_dword v194, off, s[64:67], 0 offset:8 ; 4-byte Folded Reload
	ds_write_b128 v0, v[10:13] offset:240
	ds_write_b128 v0, v[14:17] offset:256
.LBB0_17:
	s_or_b64 exec, exec, s[62:63]
	s_waitcnt vmcnt(0) lgkmcnt(0)
	s_barrier
	ds_read_b128 v[0:3], v255
	ds_read_b128 v[112:115], v255 offset:2992
	ds_read_b128 v[108:111], v255 offset:5984
	;; [unrolled: 1-line block ×6, first 2 shown]
	s_and_saveexec_b64 s[8:9], s[2:3]
	s_cbranch_execz .LBB0_19
; %bb.18:
	ds_read_b128 v[168:171], v255 offset:1904
	ds_read_b128 v[176:179], v255 offset:4896
	;; [unrolled: 1-line block ×7, first 2 shown]
.LBB0_19:
	s_or_b64 exec, exec, s[8:9]
	buffer_load_dword v26, off, s[64:67], 0 offset:64 ; 4-byte Folded Reload
	buffer_load_dword v27, off, s[64:67], 0 offset:68 ; 4-byte Folded Reload
	;; [unrolled: 1-line block ×16, first 2 shown]
	s_mov_b32 s18, 0x37e14327
	s_mov_b32 s10, 0x36b3c0b5
	;; [unrolled: 1-line block ×20, first 2 shown]
	s_waitcnt vmcnt(12) lgkmcnt(5)
	v_mul_f64 v[12:13], v[28:29], v[114:115]
	s_waitcnt vmcnt(8) lgkmcnt(4)
	v_mul_f64 v[16:17], v[24:25], v[110:111]
	v_mul_f64 v[18:19], v[24:25], v[108:109]
	s_waitcnt vmcnt(4) lgkmcnt(0)
	v_mul_f64 v[20:21], v[62:63], v[106:107]
	v_mul_f64 v[14:15], v[28:29], v[112:113]
	s_waitcnt vmcnt(0)
	v_mul_f64 v[24:25], v[42:43], v[10:11]
	v_fma_f64 v[12:13], v[26:27], v[112:113], v[12:13]
	v_fma_f64 v[16:17], v[22:23], v[108:109], v[16:17]
	v_fma_f64 v[18:19], v[22:23], v[110:111], -v[18:19]
	v_mul_f64 v[22:23], v[62:63], v[104:105]
	buffer_load_dword v62, off, s[64:67], 0 offset:96 ; 4-byte Folded Reload
	buffer_load_dword v63, off, s[64:67], 0 offset:100 ; 4-byte Folded Reload
	buffer_load_dword v64, off, s[64:67], 0 offset:104 ; 4-byte Folded Reload
	buffer_load_dword v65, off, s[64:67], 0 offset:108 ; 4-byte Folded Reload
	buffer_load_dword v36, off, s[64:67], 0 offset:16 ; 4-byte Folded Reload
	buffer_load_dword v37, off, s[64:67], 0 offset:20 ; 4-byte Folded Reload
	buffer_load_dword v38, off, s[64:67], 0 offset:24 ; 4-byte Folded Reload
	buffer_load_dword v39, off, s[64:67], 0 offset:28 ; 4-byte Folded Reload
	v_fma_f64 v[14:15], v[26:27], v[114:115], -v[14:15]
	v_mul_f64 v[26:27], v[42:43], v[8:9]
	v_fma_f64 v[20:21], v[60:61], v[104:105], v[20:21]
	v_fma_f64 v[8:9], v[40:41], v[8:9], v[24:25]
	v_fma_f64 v[22:23], v[60:61], v[106:107], -v[22:23]
	s_waitcnt vmcnt(0)
	s_barrier
	v_fma_f64 v[10:11], v[40:41], v[10:11], -v[26:27]
	v_mul_f64 v[28:29], v[64:65], v[102:103]
	v_mul_f64 v[30:31], v[64:65], v[100:101]
	;; [unrolled: 1-line block ×4, first 2 shown]
	v_fma_f64 v[24:25], v[62:63], v[100:101], v[28:29]
	v_fma_f64 v[26:27], v[62:63], v[102:103], -v[30:31]
	v_fma_f64 v[4:5], v[36:37], v[4:5], v[32:33]
	v_fma_f64 v[6:7], v[36:37], v[6:7], -v[34:35]
	v_add_f64 v[28:29], v[12:13], v[20:21]
	v_add_f64 v[30:31], v[14:15], v[22:23]
	v_add_f64 v[12:13], v[12:13], -v[20:21]
	v_add_f64 v[14:15], v[14:15], -v[22:23]
	v_add_f64 v[20:21], v[16:17], v[24:25]
	v_add_f64 v[22:23], v[18:19], v[26:27]
	v_add_f64 v[16:17], v[16:17], -v[24:25]
	v_add_f64 v[18:19], v[18:19], -v[26:27]
	;; [unrolled: 4-line block ×4, first 2 shown]
	v_add_f64 v[28:29], v[28:29], -v[24:25]
	v_add_f64 v[30:31], v[30:31], -v[26:27]
	;; [unrolled: 1-line block ×4, first 2 shown]
	v_add_f64 v[36:37], v[4:5], v[16:17]
	v_add_f64 v[38:39], v[6:7], v[18:19]
	v_add_f64 v[40:41], v[4:5], -v[16:17]
	v_add_f64 v[42:43], v[6:7], -v[18:19]
	v_add_f64 v[8:9], v[24:25], v[8:9]
	v_add_f64 v[10:11], v[26:27], v[10:11]
	v_add_f64 v[16:17], v[16:17], -v[12:13]
	v_add_f64 v[18:19], v[18:19], -v[14:15]
	;; [unrolled: 1-line block ×4, first 2 shown]
	v_add_f64 v[12:13], v[36:37], v[12:13]
	v_add_f64 v[14:15], v[38:39], v[14:15]
	;; [unrolled: 1-line block ×4, first 2 shown]
	v_mul_f64 v[24:25], v[28:29], s[18:19]
	v_mul_f64 v[26:27], v[30:31], s[18:19]
	;; [unrolled: 1-line block ×8, first 2 shown]
	v_fma_f64 v[8:9], v[8:9], s[28:29], v[0:1]
	v_fma_f64 v[10:11], v[10:11], s[28:29], v[2:3]
	;; [unrolled: 1-line block ×4, first 2 shown]
	v_fma_f64 v[28:29], v[32:33], s[16:17], -v[28:29]
	v_fma_f64 v[30:31], v[34:35], s[16:17], -v[30:31]
	;; [unrolled: 1-line block ×4, first 2 shown]
	v_fma_f64 v[32:33], v[4:5], s[30:31], v[36:37]
	v_fma_f64 v[34:35], v[6:7], s[30:31], v[38:39]
	v_fma_f64 v[4:5], v[4:5], s[26:27], -v[40:41]
	v_fma_f64 v[6:7], v[6:7], s[26:27], -v[42:43]
	;; [unrolled: 1-line block ×4, first 2 shown]
	v_add_f64 v[36:37], v[20:21], v[8:9]
	v_add_f64 v[38:39], v[22:23], v[10:11]
	;; [unrolled: 1-line block ×4, first 2 shown]
	v_fma_f64 v[28:29], v[14:15], s[24:25], v[34:35]
	v_fma_f64 v[30:31], v[12:13], s[24:25], v[32:33]
	v_add_f64 v[24:25], v[24:25], v[8:9]
	v_add_f64 v[26:27], v[26:27], v[10:11]
	v_fma_f64 v[32:33], v[14:15], s[24:25], v[6:7]
	v_fma_f64 v[34:35], v[12:13], s[24:25], v[4:5]
	;; [unrolled: 1-line block ×4, first 2 shown]
	v_add_f64 v[4:5], v[28:29], v[36:37]
	v_add_f64 v[6:7], v[38:39], -v[30:31]
	v_add_f64 v[8:9], v[32:33], v[24:25]
	v_add_f64 v[10:11], v[26:27], -v[34:35]
	v_add_f64 v[12:13], v[20:21], -v[18:19]
	v_add_f64 v[14:15], v[40:41], v[22:23]
	v_add_f64 v[16:17], v[18:19], v[20:21]
	v_add_f64 v[18:19], v[22:23], -v[40:41]
	v_add_f64 v[20:21], v[24:25], -v[32:33]
	v_add_f64 v[22:23], v[34:35], v[26:27]
	v_add_f64 v[24:25], v[36:37], -v[28:29]
	v_add_f64 v[26:27], v[30:31], v[38:39]
	ds_write_b128 v196, v[0:3]
	ds_write_b128 v196, v[4:7] offset:272
	ds_write_b128 v196, v[8:11] offset:544
	;; [unrolled: 1-line block ×6, first 2 shown]
	s_and_saveexec_b64 s[34:35], s[2:3]
	s_cbranch_execz .LBB0_21
; %bb.20:
	buffer_load_dword v32, off, s[64:67], 0 offset:200 ; 4-byte Folded Reload
	buffer_load_dword v33, off, s[64:67], 0 offset:204 ; 4-byte Folded Reload
	;; [unrolled: 1-line block ×20, first 2 shown]
	v_mul_f64 v[4:5], v[46:47], v[166:167]
	v_fma_f64 v[4:5], v[44:45], v[164:165], v[4:5]
	s_waitcnt vmcnt(16)
	v_mul_f64 v[14:15], v[34:35], v[176:177]
	s_waitcnt vmcnt(12)
	v_mul_f64 v[12:13], v[26:27], v[156:157]
	;; [unrolled: 2-line block ×5, first 2 shown]
	v_mul_f64 v[16:17], v[30:31], v[160:161]
	v_mul_f64 v[18:19], v[22:23], v[180:181]
	;; [unrolled: 1-line block ×4, first 2 shown]
	v_fma_f64 v[12:13], v[24:25], v[158:159], -v[12:13]
	v_fma_f64 v[6:7], v[36:37], v[172:173], v[6:7]
	v_fma_f64 v[8:9], v[20:21], v[180:181], v[8:9]
	;; [unrolled: 1-line block ×3, first 2 shown]
	v_fma_f64 v[14:15], v[32:33], v[178:179], -v[14:15]
	v_fma_f64 v[16:17], v[28:29], v[162:163], -v[16:17]
	;; [unrolled: 1-line block ×3, first 2 shown]
	v_mul_f64 v[20:21], v[38:39], v[172:173]
	v_mul_f64 v[22:23], v[46:47], v[164:165]
	v_fma_f64 v[0:1], v[32:33], v[176:177], v[0:1]
	v_fma_f64 v[2:3], v[24:25], v[156:157], v[2:3]
	v_add_f64 v[24:25], v[4:5], -v[6:7]
	v_add_f64 v[26:27], v[8:9], -v[10:11]
	v_add_f64 v[28:29], v[14:15], v[12:13]
	v_add_f64 v[30:31], v[18:19], v[16:17]
	v_fma_f64 v[20:21], v[36:37], v[174:175], -v[20:21]
	v_fma_f64 v[22:23], v[44:45], v[166:167], -v[22:23]
	v_add_f64 v[8:9], v[8:9], v[10:11]
	v_add_f64 v[32:33], v[0:1], -v[2:3]
	v_add_f64 v[42:43], v[0:1], v[2:3]
	v_add_f64 v[34:35], v[24:25], -v[26:27]
	v_add_f64 v[40:41], v[24:25], v[26:27]
	v_add_f64 v[36:37], v[30:31], v[28:29]
	v_add_f64 v[16:17], v[18:19], -v[16:17]
	v_add_f64 v[38:39], v[20:21], v[22:23]
	v_add_f64 v[4:5], v[6:7], v[4:5]
	v_add_f64 v[10:11], v[32:33], -v[24:25]
	v_add_f64 v[20:21], v[22:23], -v[20:21]
	v_mul_f64 v[24:25], v[34:35], s[22:23]
	v_add_f64 v[34:35], v[40:41], v[32:33]
	v_add_f64 v[12:13], v[14:15], -v[12:13]
	v_add_f64 v[26:27], v[26:27], -v[32:33]
	v_add_f64 v[0:1], v[38:39], v[36:37]
	v_add_f64 v[18:19], v[28:29], -v[38:39]
	v_add_f64 v[36:37], v[8:9], v[42:43]
	v_add_f64 v[22:23], v[38:39], -v[30:31]
	v_fma_f64 v[6:7], v[10:11], s[30:31], v[24:25]
	v_add_f64 v[14:15], v[20:21], -v[16:17]
	v_add_f64 v[32:33], v[12:13], -v[20:21]
	v_add_f64 v[20:21], v[20:21], v[16:17]
	v_add_f64 v[2:3], v[170:171], v[0:1]
	v_mul_f64 v[18:19], v[18:19], s[18:19]
	v_add_f64 v[36:37], v[4:5], v[36:37]
	v_mul_f64 v[44:45], v[22:23], s[10:11]
	v_fma_f64 v[38:39], v[34:35], s[24:25], v[6:7]
	v_add_f64 v[6:7], v[42:43], -v[4:5]
	v_mul_f64 v[46:47], v[26:27], s[8:9]
	v_add_f64 v[28:29], v[30:31], -v[28:29]
	v_fma_f64 v[40:41], v[0:1], s[28:29], v[2:3]
	v_fma_f64 v[22:23], v[22:23], s[10:11], v[18:19]
	v_add_f64 v[16:17], v[16:17], -v[12:13]
	v_add_f64 v[4:5], v[4:5], -v[8:9]
	v_add_f64 v[0:1], v[168:169], v[36:37]
	v_mul_f64 v[6:7], v[6:7], s[18:19]
	v_mul_f64 v[14:15], v[14:15], s[22:23]
	v_add_f64 v[12:13], v[20:21], v[12:13]
	v_fma_f64 v[10:11], v[10:11], s[26:27], -v[46:47]
	v_add_f64 v[20:21], v[22:23], v[40:41]
	v_fma_f64 v[18:19], v[28:29], s[20:21], -v[18:19]
	v_add_f64 v[8:9], v[8:9], -v[42:43]
	v_mul_f64 v[22:23], v[16:17], s[8:9]
	v_fma_f64 v[30:31], v[4:5], s[10:11], v[6:7]
	v_mul_f64 v[4:5], v[4:5], s[10:11]
	v_fma_f64 v[36:37], v[36:37], s[28:29], v[0:1]
	v_fma_f64 v[48:49], v[32:33], s[30:31], v[14:15]
	v_fma_f64 v[28:29], v[28:29], s[16:17], -v[44:45]
	v_fma_f64 v[24:25], v[26:27], s[8:9], -v[24:25]
	v_fma_f64 v[26:27], v[34:35], s[24:25], v[10:11]
	v_add_f64 v[44:45], v[18:19], v[40:41]
	v_fma_f64 v[10:11], v[8:9], s[20:21], -v[6:7]
	v_fma_f64 v[18:19], v[32:33], s[26:27], -v[22:23]
	;; [unrolled: 1-line block ×4, first 2 shown]
	v_add_f64 v[30:31], v[30:31], v[36:37]
	v_fma_f64 v[42:43], v[12:13], s[24:25], v[48:49]
	v_add_f64 v[16:17], v[28:29], v[40:41]
	v_fma_f64 v[22:23], v[34:35], s[24:25], v[24:25]
	;; [unrolled: 2-line block ×4, first 2 shown]
	v_add_f64 v[10:11], v[26:27], v[44:45]
	v_add_f64 v[24:25], v[42:43], v[30:31]
	;; [unrolled: 1-line block ×3, first 2 shown]
	v_add_f64 v[14:15], v[16:17], -v[22:23]
	v_add_f64 v[18:19], v[22:23], v[16:17]
	v_add_f64 v[22:23], v[44:45], -v[26:27]
	v_add_f64 v[26:27], v[20:21], -v[38:39]
	v_add_f64 v[20:21], v[32:33], v[28:29]
	v_add_f64 v[16:17], v[8:9], -v[12:13]
	v_add_f64 v[12:13], v[12:13], v[8:9]
	v_add_f64 v[8:9], v[28:29], -v[32:33]
	v_add_f64 v[4:5], v[30:31], -v[42:43]
	v_mul_u32_u24_e32 v28, 0x77, v50
	v_add_lshl_u32 v28, v28, v51, 4
	ds_write_b128 v28, v[0:3]
	ds_write_b128 v28, v[24:27] offset:272
	ds_write_b128 v28, v[20:23] offset:544
	;; [unrolled: 1-line block ×6, first 2 shown]
.LBB0_21:
	s_or_b64 exec, exec, s[34:35]
	s_waitcnt lgkmcnt(0)
	s_barrier
	ds_read_b128 v[0:3], v255 offset:1904
	buffer_load_dword v20, off, s[64:67], 0 offset:128 ; 4-byte Folded Reload
	buffer_load_dword v21, off, s[64:67], 0 offset:132 ; 4-byte Folded Reload
	;; [unrolled: 1-line block ×4, first 2 shown]
	ds_read_b128 v[4:7], v255 offset:3808
	ds_read_b128 v[8:11], v255 offset:5712
	s_mov_b32 s16, 0xf8bb580b
	s_mov_b32 s17, 0xbfe14ced
	;; [unrolled: 1-line block ×30, first 2 shown]
	s_waitcnt vmcnt(0) lgkmcnt(2)
	v_mul_f64 v[12:13], v[22:23], v[2:3]
	v_mul_f64 v[14:15], v[22:23], v[0:1]
	v_fma_f64 v[28:29], v[20:21], v[0:1], v[12:13]
	v_fma_f64 v[30:31], v[20:21], v[2:3], -v[14:15]
	ds_read_b128 v[0:3], v255 offset:7616
	ds_read_b128 v[12:15], v255
	s_waitcnt lgkmcnt(3)
	v_mul_f64 v[16:17], v[96:97], v[6:7]
	v_mul_f64 v[18:19], v[96:97], v[4:5]
	s_waitcnt lgkmcnt(2)
	v_mul_f64 v[20:21], v[58:59], v[10:11]
	v_mul_f64 v[22:23], v[58:59], v[8:9]
	;; [unrolled: 3-line block ×3, first 2 shown]
	v_fma_f64 v[32:33], v[94:95], v[4:5], v[16:17]
	v_fma_f64 v[34:35], v[94:95], v[6:7], -v[18:19]
	s_waitcnt lgkmcnt(0)
	v_add_f64 v[16:17], v[12:13], v[28:29]
	v_add_f64 v[18:19], v[14:15], v[30:31]
	ds_read_b128 v[4:7], v255 offset:9520
	v_fma_f64 v[36:37], v[56:57], v[8:9], v[20:21]
	v_fma_f64 v[38:39], v[56:57], v[10:11], -v[22:23]
	v_fma_f64 v[44:45], v[70:71], v[0:1], v[24:25]
	v_fma_f64 v[46:47], v[70:71], v[2:3], -v[26:27]
	v_add_f64 v[20:21], v[16:17], v[32:33]
	v_add_f64 v[22:23], v[18:19], v[34:35]
	ds_read_b128 v[8:11], v255 offset:11424
	ds_read_b128 v[16:19], v255 offset:13328
	buffer_load_dword v56, off, s[64:67], 0 offset:112 ; 4-byte Folded Reload
	buffer_load_dword v57, off, s[64:67], 0 offset:116 ; 4-byte Folded Reload
	;; [unrolled: 1-line block ×4, first 2 shown]
	s_waitcnt lgkmcnt(1)
	v_mul_f64 v[52:53], v[84:85], v[10:11]
	v_mul_f64 v[54:55], v[84:85], v[8:9]
	v_add_f64 v[48:49], v[20:21], v[36:37]
	v_add_f64 v[50:51], v[22:23], v[38:39]
	ds_read_b128 v[0:3], v255 offset:15232
	ds_read_b128 v[20:23], v255 offset:17136
	ds_read_b128 v[24:27], v255 offset:19040
	v_fma_f64 v[8:9], v[82:83], v[8:9], v[52:53]
	v_fma_f64 v[10:11], v[82:83], v[10:11], -v[54:55]
	s_waitcnt lgkmcnt(0)
	v_mul_f64 v[52:53], v[92:93], v[24:25]
	v_mul_f64 v[54:55], v[68:69], v[2:3]
	v_fma_f64 v[54:55], v[66:67], v[0:1], v[54:55]
	s_waitcnt vmcnt(0)
	v_mul_f64 v[40:41], v[58:59], v[6:7]
	v_mul_f64 v[42:43], v[58:59], v[4:5]
	v_fma_f64 v[4:5], v[56:57], v[4:5], v[40:41]
	v_fma_f64 v[6:7], v[56:57], v[6:7], -v[42:43]
	v_add_f64 v[40:41], v[48:49], v[44:45]
	v_add_f64 v[42:43], v[50:51], v[46:47]
	v_mul_f64 v[48:49], v[80:81], v[18:19]
	v_mul_f64 v[50:51], v[80:81], v[16:17]
	;; [unrolled: 1-line block ×3, first 2 shown]
	v_add_f64 v[40:41], v[40:41], v[4:5]
	v_add_f64 v[42:43], v[42:43], v[6:7]
	v_fma_f64 v[16:17], v[78:79], v[16:17], v[48:49]
	v_fma_f64 v[18:19], v[78:79], v[18:19], -v[50:51]
	v_mul_f64 v[48:49], v[92:93], v[26:27]
	v_fma_f64 v[26:27], v[90:91], v[26:27], -v[52:53]
	v_mul_f64 v[50:51], v[88:89], v[22:23]
	v_mul_f64 v[52:53], v[88:89], v[20:21]
	v_add_f64 v[40:41], v[40:41], v[8:9]
	v_add_f64 v[42:43], v[42:43], v[10:11]
	v_fma_f64 v[56:57], v[66:67], v[2:3], -v[56:57]
	v_fma_f64 v[24:25], v[90:91], v[24:25], v[48:49]
	v_fma_f64 v[20:21], v[86:87], v[20:21], v[50:51]
	v_fma_f64 v[22:23], v[86:87], v[22:23], -v[52:53]
	v_add_f64 v[0:1], v[40:41], v[16:17]
	v_add_f64 v[2:3], v[42:43], v[18:19]
	v_add_f64 v[40:41], v[30:31], -v[26:27]
	v_add_f64 v[30:31], v[30:31], v[26:27]
	v_add_f64 v[42:43], v[28:29], v[24:25]
	v_add_f64 v[28:29], v[28:29], -v[24:25]
	v_add_f64 v[84:85], v[32:33], v[20:21]
	v_add_f64 v[80:81], v[34:35], -v[22:23]
	v_add_f64 v[0:1], v[0:1], v[54:55]
	v_add_f64 v[2:3], v[2:3], v[56:57]
	v_mul_f64 v[48:49], v[40:41], s[16:17]
	v_mul_f64 v[50:51], v[30:31], s[10:11]
	;; [unrolled: 1-line block ×6, first 2 shown]
	v_add_f64 v[0:1], v[0:1], v[20:21]
	v_add_f64 v[2:3], v[2:3], v[22:23]
	v_fma_f64 v[52:53], v[42:43], s[10:11], v[48:49]
	v_mul_f64 v[70:71], v[40:41], s[28:29]
	v_mul_f64 v[72:73], v[30:31], s[30:31]
	v_mul_f64 v[40:41], v[40:41], s[36:37]
	v_mul_f64 v[30:31], v[30:31], s[38:39]
	v_add_f64 v[22:23], v[34:35], v[22:23]
	v_fma_f64 v[62:63], v[28:29], s[22:23], v[50:51]
	v_add_f64 v[0:1], v[0:1], v[24:25]
	v_add_f64 v[2:3], v[2:3], v[26:27]
	v_fma_f64 v[24:25], v[42:43], s[10:11], -v[48:49]
	v_add_f64 v[26:27], v[12:13], v[52:53]
	v_fma_f64 v[48:49], v[28:29], s[16:17], v[50:51]
	v_fma_f64 v[52:53], v[28:29], s[18:19], v[60:61]
	;; [unrolled: 1-line block ×9, first 2 shown]
	v_add_f64 v[20:21], v[32:33], -v[20:21]
	v_mul_f64 v[32:33], v[80:81], s[2:3]
	v_mul_f64 v[86:87], v[22:23], s[8:9]
	v_fma_f64 v[28:29], v[28:29], s[36:37], v[30:31]
	v_fma_f64 v[50:51], v[42:43], s[8:9], v[58:59]
	v_add_f64 v[62:63], v[14:15], v[62:63]
	v_add_f64 v[24:25], v[12:13], v[24:25]
	;; [unrolled: 1-line block ×4, first 2 shown]
	v_fma_f64 v[58:59], v[42:43], s[8:9], -v[58:59]
	v_fma_f64 v[66:67], v[42:43], s[24:25], v[64:65]
	v_fma_f64 v[64:65], v[42:43], s[24:25], -v[64:65]
	v_fma_f64 v[76:77], v[42:43], s[30:31], v[70:71]
	v_add_f64 v[60:61], v[14:15], v[60:61]
	v_add_f64 v[74:75], v[14:15], v[74:75]
	;; [unrolled: 1-line block ×4, first 2 shown]
	v_fma_f64 v[70:71], v[42:43], s[30:31], -v[70:71]
	v_add_f64 v[72:73], v[14:15], v[72:73]
	v_fma_f64 v[40:41], v[42:43], s[38:39], -v[40:41]
	v_add_f64 v[30:31], v[12:13], v[34:35]
	v_add_f64 v[34:35], v[14:15], v[82:83]
	v_mul_f64 v[42:43], v[80:81], s[28:29]
	v_mul_f64 v[82:83], v[22:23], s[30:31]
	v_fma_f64 v[88:89], v[84:85], s[8:9], v[32:33]
	v_fma_f64 v[90:91], v[20:21], s[18:19], v[86:87]
	v_add_f64 v[14:15], v[14:15], v[28:29]
	v_fma_f64 v[28:29], v[84:85], s[8:9], -v[32:33]
	v_fma_f64 v[32:33], v[20:21], s[2:3], v[86:87]
	v_add_f64 v[50:51], v[12:13], v[50:51]
	v_add_f64 v[58:59], v[12:13], v[58:59]
	;; [unrolled: 1-line block ×7, first 2 shown]
	v_fma_f64 v[40:41], v[84:85], s[30:31], v[42:43]
	v_fma_f64 v[86:87], v[20:21], s[34:35], v[82:83]
	v_add_f64 v[26:27], v[88:89], v[26:27]
	v_add_f64 v[62:63], v[90:91], v[62:63]
	v_mul_f64 v[88:89], v[80:81], s[40:41]
	v_mul_f64 v[90:91], v[22:23], s[38:39]
	v_add_f64 v[24:25], v[28:29], v[24:25]
	v_add_f64 v[28:29], v[32:33], v[48:49]
	v_fma_f64 v[42:43], v[84:85], s[30:31], -v[42:43]
	v_fma_f64 v[48:49], v[20:21], s[28:29], v[82:83]
	v_mul_f64 v[82:83], v[80:81], s[26:27]
	v_add_f64 v[32:33], v[40:41], v[50:51]
	v_add_f64 v[40:41], v[86:87], v[52:53]
	v_fma_f64 v[50:51], v[84:85], s[38:39], v[88:89]
	v_fma_f64 v[52:53], v[20:21], s[36:37], v[90:91]
	v_mul_f64 v[86:87], v[22:23], s[24:25]
	v_fma_f64 v[90:91], v[20:21], s[40:41], v[90:91]
	v_add_f64 v[42:43], v[42:43], v[58:59]
	v_fma_f64 v[58:59], v[84:85], s[24:25], v[82:83]
	v_mul_f64 v[80:81], v[80:81], s[22:23]
	v_mul_f64 v[22:23], v[22:23], s[10:11]
	v_add_f64 v[50:51], v[50:51], v[66:67]
	v_add_f64 v[52:53], v[52:53], v[74:75]
	v_fma_f64 v[74:75], v[20:21], s[26:27], v[86:87]
	v_add_f64 v[66:67], v[90:91], v[68:69]
	v_fma_f64 v[68:69], v[84:85], s[24:25], -v[82:83]
	v_add_f64 v[58:59], v[58:59], v[76:77]
	v_add_f64 v[76:77], v[38:39], -v[56:57]
	v_add_f64 v[48:49], v[48:49], v[60:61]
	v_fma_f64 v[60:61], v[20:21], s[20:21], v[86:87]
	v_add_f64 v[38:39], v[38:39], v[56:57]
	v_fma_f64 v[88:89], v[84:85], s[38:39], -v[88:89]
	v_add_f64 v[56:57], v[68:69], v[70:71]
	v_add_f64 v[68:69], v[74:75], v[72:73]
	v_fma_f64 v[70:71], v[84:85], s[10:11], v[80:81]
	v_fma_f64 v[72:73], v[20:21], s[16:17], v[22:23]
	v_add_f64 v[74:75], v[36:37], v[54:55]
	v_add_f64 v[36:37], v[36:37], -v[54:55]
	v_mul_f64 v[54:55], v[76:77], s[20:21]
	v_add_f64 v[60:61], v[60:61], v[78:79]
	v_mul_f64 v[78:79], v[38:39], s[24:25]
	v_fma_f64 v[20:21], v[20:21], s[22:23], v[22:23]
	v_add_f64 v[22:23], v[70:71], v[30:31]
	v_add_f64 v[30:31], v[72:73], v[34:35]
	v_mul_f64 v[34:35], v[76:77], s[40:41]
	v_fma_f64 v[80:81], v[84:85], s[10:11], -v[80:81]
	v_fma_f64 v[72:73], v[74:75], s[24:25], v[54:55]
	v_mul_f64 v[70:71], v[38:39], s[38:39]
	v_fma_f64 v[82:83], v[36:37], s[26:27], v[78:79]
	v_add_f64 v[14:15], v[20:21], v[14:15]
	v_fma_f64 v[20:21], v[74:75], s[24:25], -v[54:55]
	v_fma_f64 v[54:55], v[36:37], s[20:21], v[78:79]
	v_fma_f64 v[78:79], v[74:75], s[38:39], v[34:35]
	v_add_f64 v[12:13], v[80:81], v[12:13]
	v_add_f64 v[26:27], v[72:73], v[26:27]
	v_mul_f64 v[72:73], v[76:77], s[18:19]
	v_fma_f64 v[80:81], v[36:37], s[36:37], v[70:71]
	v_add_f64 v[62:63], v[82:83], v[62:63]
	v_mul_f64 v[82:83], v[38:39], s[8:9]
	v_add_f64 v[20:21], v[20:21], v[24:25]
	v_add_f64 v[24:25], v[54:55], v[28:29]
	;; [unrolled: 1-line block ×3, first 2 shown]
	v_fma_f64 v[34:35], v[74:75], s[38:39], -v[34:35]
	v_fma_f64 v[54:55], v[74:75], s[8:9], v[72:73]
	v_mul_f64 v[78:79], v[76:77], s[16:17]
	v_add_f64 v[64:65], v[88:89], v[64:65]
	v_add_f64 v[32:33], v[80:81], v[40:41]
	v_fma_f64 v[40:41], v[36:37], s[40:41], v[70:71]
	v_fma_f64 v[70:71], v[36:37], s[2:3], v[82:83]
	v_fma_f64 v[72:73], v[74:75], s[8:9], -v[72:73]
	v_fma_f64 v[82:83], v[36:37], s[18:19], v[82:83]
	v_add_f64 v[34:35], v[34:35], v[42:43]
	v_add_f64 v[42:43], v[54:55], v[50:51]
	v_fma_f64 v[50:51], v[74:75], s[10:11], v[78:79]
	v_mul_f64 v[80:81], v[38:39], s[10:11]
	v_add_f64 v[40:41], v[40:41], v[48:49]
	v_add_f64 v[48:49], v[70:71], v[52:53]
	;; [unrolled: 1-line block ×4, first 2 shown]
	v_mul_f64 v[66:67], v[76:77], s[28:29]
	v_fma_f64 v[70:71], v[74:75], s[10:11], -v[78:79]
	v_add_f64 v[50:51], v[50:51], v[58:59]
	v_add_f64 v[58:59], v[46:47], -v[18:19]
	v_fma_f64 v[52:53], v[36:37], s[22:23], v[80:81]
	v_mul_f64 v[38:39], v[38:39], s[30:31]
	v_fma_f64 v[72:73], v[36:37], s[16:17], v[80:81]
	v_add_f64 v[18:19], v[46:47], v[18:19]
	v_fma_f64 v[46:47], v[74:75], s[30:31], v[66:67]
	v_add_f64 v[56:57], v[70:71], v[56:57]
	v_add_f64 v[70:71], v[44:45], v[16:17]
	v_add_f64 v[16:17], v[44:45], -v[16:17]
	v_mul_f64 v[44:45], v[58:59], s[28:29]
	v_add_f64 v[52:53], v[52:53], v[60:61]
	v_fma_f64 v[60:61], v[36:37], s[34:35], v[38:39]
	v_add_f64 v[68:69], v[72:73], v[68:69]
	v_mul_f64 v[72:73], v[18:19], s[30:31]
	v_add_f64 v[22:23], v[46:47], v[22:23]
	v_fma_f64 v[46:47], v[74:75], s[30:31], -v[66:67]
	v_fma_f64 v[36:37], v[36:37], s[28:29], v[38:39]
	v_fma_f64 v[66:67], v[70:71], s[30:31], v[44:45]
	v_fma_f64 v[44:45], v[70:71], s[30:31], -v[44:45]
	v_add_f64 v[30:31], v[60:61], v[30:31]
	v_mul_f64 v[38:39], v[58:59], s[26:27]
	v_mul_f64 v[60:61], v[18:19], s[24:25]
	v_fma_f64 v[74:75], v[16:17], s[34:35], v[72:73]
	v_fma_f64 v[72:73], v[16:17], s[28:29], v[72:73]
	v_add_f64 v[12:13], v[46:47], v[12:13]
	v_add_f64 v[14:15], v[36:37], v[14:15]
	;; [unrolled: 1-line block ×3, first 2 shown]
	v_mul_f64 v[44:45], v[58:59], s[16:17]
	v_fma_f64 v[36:37], v[70:71], s[24:25], v[38:39]
	v_fma_f64 v[46:47], v[16:17], s[20:21], v[60:61]
	v_add_f64 v[26:27], v[66:67], v[26:27]
	v_add_f64 v[24:25], v[72:73], v[24:25]
	v_mul_f64 v[66:67], v[18:19], s[10:11]
	v_fma_f64 v[38:39], v[70:71], s[24:25], -v[38:39]
	v_fma_f64 v[60:61], v[16:17], s[26:27], v[60:61]
	v_fma_f64 v[72:73], v[70:71], s[10:11], v[44:45]
	v_fma_f64 v[44:45], v[70:71], s[10:11], -v[44:45]
	v_add_f64 v[62:63], v[74:75], v[62:63]
	v_add_f64 v[28:29], v[36:37], v[28:29]
	v_add_f64 v[32:33], v[46:47], v[32:33]
	v_mul_f64 v[36:37], v[58:59], s[36:37]
	v_mul_f64 v[46:47], v[18:19], s[38:39]
	v_fma_f64 v[74:75], v[16:17], s[22:23], v[66:67]
	v_fma_f64 v[66:67], v[16:17], s[16:17], v[66:67]
	v_add_f64 v[34:35], v[38:39], v[34:35]
	v_add_f64 v[38:39], v[60:61], v[40:41]
	;; [unrolled: 1-line block ×3, first 2 shown]
	v_add_f64 v[54:55], v[6:7], -v[10:11]
	v_add_f64 v[60:61], v[6:7], v[10:11]
	v_mul_f64 v[6:7], v[58:59], s[18:19]
	v_mul_f64 v[10:11], v[18:19], s[8:9]
	v_fma_f64 v[76:77], v[70:71], s[38:39], v[36:37]
	v_fma_f64 v[78:79], v[16:17], s[40:41], v[46:47]
	v_add_f64 v[40:41], v[72:73], v[42:43]
	v_add_f64 v[42:43], v[74:75], v[48:49]
	v_add_f64 v[48:49], v[66:67], v[64:65]
	v_fma_f64 v[18:19], v[70:71], s[38:39], -v[36:37]
	v_fma_f64 v[36:37], v[16:17], s[36:37], v[46:47]
	v_add_f64 v[46:47], v[4:5], v[8:9]
	v_add_f64 v[58:59], v[4:5], -v[8:9]
	v_mul_f64 v[8:9], v[54:55], s[36:37]
	v_fma_f64 v[4:5], v[70:71], s[8:9], v[6:7]
	v_fma_f64 v[66:67], v[16:17], s[2:3], v[10:11]
	v_mul_f64 v[64:65], v[60:61], s[38:39]
	v_fma_f64 v[6:7], v[70:71], s[8:9], -v[6:7]
	v_add_f64 v[68:69], v[36:37], v[68:69]
	v_fma_f64 v[10:11], v[16:17], s[18:19], v[10:11]
	v_add_f64 v[56:57], v[18:19], v[56:57]
	v_fma_f64 v[16:17], v[46:47], s[38:39], v[8:9]
	v_add_f64 v[36:37], v[4:5], v[22:23]
	v_add_f64 v[66:67], v[66:67], v[30:31]
	v_mul_f64 v[22:23], v[54:55], s[22:23]
	v_mul_f64 v[30:31], v[60:61], s[10:11]
	v_fma_f64 v[18:19], v[58:59], s[40:41], v[64:65]
	v_add_f64 v[70:71], v[6:7], v[12:13]
	v_add_f64 v[72:73], v[10:11], v[14:15]
	;; [unrolled: 1-line block ×3, first 2 shown]
	v_fma_f64 v[8:9], v[46:47], s[38:39], -v[8:9]
	v_fma_f64 v[10:11], v[58:59], s[36:37], v[64:65]
	v_fma_f64 v[12:13], v[46:47], s[10:11], v[22:23]
	;; [unrolled: 1-line block ×3, first 2 shown]
	v_mul_f64 v[26:27], v[54:55], s[28:29]
	v_fma_f64 v[16:17], v[46:47], s[10:11], -v[22:23]
	v_mul_f64 v[22:23], v[60:61], s[30:31]
	v_add_f64 v[6:7], v[18:19], v[62:63]
	v_fma_f64 v[18:19], v[58:59], s[22:23], v[30:31]
	v_add_f64 v[8:9], v[8:9], v[20:21]
	v_add_f64 v[10:11], v[10:11], v[24:25]
	;; [unrolled: 1-line block ×4, first 2 shown]
	v_fma_f64 v[20:21], v[46:47], s[30:31], v[26:27]
	v_fma_f64 v[24:25], v[58:59], s[34:35], v[22:23]
	v_fma_f64 v[26:27], v[46:47], s[30:31], -v[26:27]
	v_fma_f64 v[28:29], v[58:59], s[28:29], v[22:23]
	v_mul_f64 v[30:31], v[54:55], s[18:19]
	v_mul_f64 v[32:33], v[60:61], s[8:9]
	v_add_f64 v[16:17], v[16:17], v[34:35]
	v_add_f64 v[18:19], v[18:19], v[38:39]
	v_mul_f64 v[34:35], v[54:55], s[20:21]
	v_mul_f64 v[38:39], v[60:61], s[24:25]
	v_add_f64 v[50:51], v[76:77], v[50:51]
	v_add_f64 v[52:53], v[78:79], v[52:53]
	;; [unrolled: 1-line block ×6, first 2 shown]
	v_fma_f64 v[28:29], v[46:47], s[8:9], v[30:31]
	v_fma_f64 v[40:41], v[58:59], s[2:3], v[32:33]
	;; [unrolled: 1-line block ×4, first 2 shown]
	v_fma_f64 v[42:43], v[46:47], s[8:9], -v[30:31]
	v_fma_f64 v[34:35], v[46:47], s[24:25], -v[34:35]
	v_fma_f64 v[46:47], v[58:59], s[20:21], v[38:39]
	v_fma_f64 v[54:55], v[58:59], s[18:19], v[32:33]
	v_add_f64 v[28:29], v[28:29], v[50:51]
	v_add_f64 v[30:31], v[40:41], v[52:53]
	;; [unrolled: 1-line block ×8, first 2 shown]
	ds_write_b128 v255, v[0:3]
	ds_write_b128 v255, v[4:7] offset:1904
	ds_write_b128 v255, v[12:15] offset:3808
	;; [unrolled: 1-line block ×10, first 2 shown]
	s_waitcnt lgkmcnt(0)
	s_barrier
	s_and_b64 exec, exec, s[0:1]
	s_cbranch_execz .LBB0_23
; %bb.22:
	global_load_dwordx4 v[0:3], v255, s[12:13]
	buffer_load_dword v22, off, s[64:67], 0 ; 4-byte Folded Reload
	buffer_load_dword v23, off, s[64:67], 0 offset:4 ; 4-byte Folded Reload
	ds_read_b128 v[4:7], v255
	v_mad_u64_u32 v[14:15], s[0:1], s4, v194, 0
	ds_read_b128 v[8:11], v255 offset:1232
	ds_read_b128 v[16:19], v255 offset:19712
	s_mul_i32 s3, s5, 0x4d0
	s_mul_i32 s2, s4, 0x4d0
	s_waitcnt vmcnt(2) lgkmcnt(2)
	v_mul_f64 v[20:21], v[6:7], v[2:3]
	v_mul_f64 v[2:3], v[4:5], v[2:3]
	s_waitcnt vmcnt(1)
	v_mad_u64_u32 v[12:13], s[0:1], s6, v22, 0
	s_waitcnt vmcnt(0)
	v_mad_u64_u32 v[22:23], s[0:1], s7, v22, v[13:14]
	v_fma_f64 v[4:5], v[4:5], v[0:1], v[20:21]
	v_fma_f64 v[2:3], v[0:1], v[6:7], -v[2:3]
	s_waitcnt lgkmcnt(0)
	v_mad_u64_u32 v[23:24], s[0:1], s5, v194, v[15:16]
	s_mov_b32 s0, 0xd336f476
	s_mov_b32 s1, 0x3f490868
	v_mov_b32_e32 v13, v22
	v_lshlrev_b64 v[6:7], 4, v[12:13]
	v_mul_f64 v[0:1], v[4:5], s[0:1]
	v_mul_f64 v[2:3], v[2:3], s[0:1]
	v_mov_b32_e32 v15, v23
	v_mov_b32_e32 v20, s15
	v_lshlrev_b64 v[12:13], 4, v[14:15]
	v_add_co_u32_e32 v4, vcc, s14, v6
	v_addc_co_u32_e32 v5, vcc, v20, v7, vcc
	v_add_co_u32_e32 v4, vcc, v4, v12
	v_addc_co_u32_e32 v5, vcc, v5, v13, vcc
	global_store_dwordx4 v[4:5], v[0:3], off
	global_load_dwordx4 v[0:3], v255, s[12:13] offset:1232
	s_mul_hi_u32 s5, s4, 0x4d0
	s_add_i32 s3, s5, s3
	v_add_co_u32_e32 v12, vcc, s2, v4
	s_movk_i32 s4, 0x1000
	s_waitcnt vmcnt(0)
	v_mul_f64 v[6:7], v[10:11], v[2:3]
	v_mul_f64 v[2:3], v[8:9], v[2:3]
	v_fma_f64 v[6:7], v[8:9], v[0:1], v[6:7]
	v_fma_f64 v[2:3], v[0:1], v[10:11], -v[2:3]
	v_mul_f64 v[0:1], v[6:7], s[0:1]
	v_mul_f64 v[2:3], v[2:3], s[0:1]
	v_mov_b32_e32 v6, s3
	v_addc_co_u32_e32 v13, vcc, v5, v6, vcc
	global_store_dwordx4 v[12:13], v[0:3], off
	global_load_dwordx4 v[0:3], v255, s[12:13] offset:2464
	ds_read_b128 v[4:7], v255 offset:2464
	ds_read_b128 v[8:11], v255 offset:3696
	s_waitcnt vmcnt(0) lgkmcnt(1)
	v_mul_f64 v[14:15], v[6:7], v[2:3]
	v_mul_f64 v[2:3], v[4:5], v[2:3]
	v_fma_f64 v[4:5], v[4:5], v[0:1], v[14:15]
	v_fma_f64 v[2:3], v[0:1], v[6:7], -v[2:3]
	v_mul_f64 v[0:1], v[4:5], s[0:1]
	v_mul_f64 v[2:3], v[2:3], s[0:1]
	v_mov_b32_e32 v5, s3
	v_add_co_u32_e32 v4, vcc, s2, v12
	v_addc_co_u32_e32 v5, vcc, v13, v5, vcc
	v_mov_b32_e32 v12, s13
	v_add_co_u32_e32 v22, vcc, s12, v255
	global_store_dwordx4 v[4:5], v[0:3], off
	global_load_dwordx4 v[0:3], v255, s[12:13] offset:3696
	v_addc_co_u32_e32 v23, vcc, 0, v12, vcc
	v_add_co_u32_e32 v12, vcc, s4, v22
	v_addc_co_u32_e32 v13, vcc, 0, v23, vcc
	v_add_co_u32_e32 v14, vcc, s2, v4
	s_movk_i32 s4, 0x2000
	s_waitcnt vmcnt(0) lgkmcnt(0)
	v_mul_f64 v[6:7], v[10:11], v[2:3]
	v_mul_f64 v[2:3], v[8:9], v[2:3]
	v_fma_f64 v[6:7], v[8:9], v[0:1], v[6:7]
	v_fma_f64 v[2:3], v[0:1], v[10:11], -v[2:3]
	v_mov_b32_e32 v8, s3
	v_addc_co_u32_e32 v15, vcc, v5, v8, vcc
	v_mul_f64 v[0:1], v[6:7], s[0:1]
	v_mul_f64 v[2:3], v[2:3], s[0:1]
	global_store_dwordx4 v[14:15], v[0:3], off
	global_load_dwordx4 v[0:3], v[12:13], off offset:832
	ds_read_b128 v[4:7], v255 offset:4928
	ds_read_b128 v[8:11], v255 offset:6160
	s_waitcnt vmcnt(0) lgkmcnt(1)
	v_mul_f64 v[20:21], v[6:7], v[2:3]
	v_mul_f64 v[2:3], v[4:5], v[2:3]
	v_fma_f64 v[4:5], v[4:5], v[0:1], v[20:21]
	v_fma_f64 v[2:3], v[0:1], v[6:7], -v[2:3]
	v_mul_f64 v[0:1], v[4:5], s[0:1]
	v_mul_f64 v[2:3], v[2:3], s[0:1]
	v_mov_b32_e32 v5, s3
	v_add_co_u32_e32 v4, vcc, s2, v14
	v_addc_co_u32_e32 v5, vcc, v15, v5, vcc
	v_add_co_u32_e32 v14, vcc, s2, v4
	global_store_dwordx4 v[4:5], v[0:3], off
	global_load_dwordx4 v[0:3], v[12:13], off offset:2064
	s_waitcnt vmcnt(0) lgkmcnt(0)
	v_mul_f64 v[6:7], v[10:11], v[2:3]
	v_mul_f64 v[2:3], v[8:9], v[2:3]
	v_fma_f64 v[6:7], v[8:9], v[0:1], v[6:7]
	v_fma_f64 v[2:3], v[0:1], v[10:11], -v[2:3]
	v_mul_f64 v[0:1], v[6:7], s[0:1]
	v_mul_f64 v[2:3], v[2:3], s[0:1]
	v_mov_b32_e32 v6, s3
	v_addc_co_u32_e32 v15, vcc, v5, v6, vcc
	global_store_dwordx4 v[14:15], v[0:3], off
	global_load_dwordx4 v[0:3], v[12:13], off offset:3296
	ds_read_b128 v[4:7], v255 offset:7392
	ds_read_b128 v[8:11], v255 offset:8624
	s_waitcnt vmcnt(0) lgkmcnt(1)
	v_mul_f64 v[12:13], v[6:7], v[2:3]
	v_mul_f64 v[2:3], v[4:5], v[2:3]
	v_fma_f64 v[4:5], v[4:5], v[0:1], v[12:13]
	v_fma_f64 v[2:3], v[0:1], v[6:7], -v[2:3]
	v_add_co_u32_e32 v12, vcc, s4, v22
	v_addc_co_u32_e32 v13, vcc, 0, v23, vcc
	v_mov_b32_e32 v6, s3
	s_movk_i32 s4, 0x3000
	v_mul_f64 v[0:1], v[4:5], s[0:1]
	v_mul_f64 v[2:3], v[2:3], s[0:1]
	v_add_co_u32_e32 v4, vcc, s2, v14
	v_addc_co_u32_e32 v5, vcc, v15, v6, vcc
	v_add_co_u32_e32 v14, vcc, s2, v4
	global_store_dwordx4 v[4:5], v[0:3], off
	global_load_dwordx4 v[0:3], v[12:13], off offset:432
	s_waitcnt vmcnt(0) lgkmcnt(0)
	v_mul_f64 v[6:7], v[10:11], v[2:3]
	v_mul_f64 v[2:3], v[8:9], v[2:3]
	v_fma_f64 v[6:7], v[8:9], v[0:1], v[6:7]
	v_fma_f64 v[2:3], v[0:1], v[10:11], -v[2:3]
	v_mul_f64 v[0:1], v[6:7], s[0:1]
	v_mul_f64 v[2:3], v[2:3], s[0:1]
	v_mov_b32_e32 v6, s3
	v_addc_co_u32_e32 v15, vcc, v5, v6, vcc
	global_store_dwordx4 v[14:15], v[0:3], off
	global_load_dwordx4 v[0:3], v[12:13], off offset:1664
	ds_read_b128 v[4:7], v255 offset:9856
	ds_read_b128 v[8:11], v255 offset:11088
	s_waitcnt vmcnt(0) lgkmcnt(1)
	v_mul_f64 v[20:21], v[6:7], v[2:3]
	v_mul_f64 v[2:3], v[4:5], v[2:3]
	v_fma_f64 v[4:5], v[4:5], v[0:1], v[20:21]
	v_fma_f64 v[2:3], v[0:1], v[6:7], -v[2:3]
	v_mul_f64 v[0:1], v[4:5], s[0:1]
	v_mul_f64 v[2:3], v[2:3], s[0:1]
	v_mov_b32_e32 v5, s3
	v_add_co_u32_e32 v4, vcc, s2, v14
	v_addc_co_u32_e32 v5, vcc, v15, v5, vcc
	global_store_dwordx4 v[4:5], v[0:3], off
	global_load_dwordx4 v[0:3], v[12:13], off offset:2896
	v_add_co_u32_e32 v12, vcc, s4, v22
	v_addc_co_u32_e32 v13, vcc, 0, v23, vcc
	v_add_co_u32_e32 v14, vcc, s2, v4
	s_movk_i32 s4, 0x4000
	s_waitcnt vmcnt(0) lgkmcnt(0)
	v_mul_f64 v[6:7], v[10:11], v[2:3]
	v_mul_f64 v[2:3], v[8:9], v[2:3]
	v_fma_f64 v[6:7], v[8:9], v[0:1], v[6:7]
	v_fma_f64 v[2:3], v[0:1], v[10:11], -v[2:3]
	v_mov_b32_e32 v8, s3
	v_addc_co_u32_e32 v15, vcc, v5, v8, vcc
	v_mul_f64 v[0:1], v[6:7], s[0:1]
	v_mul_f64 v[2:3], v[2:3], s[0:1]
	global_store_dwordx4 v[14:15], v[0:3], off
	global_load_dwordx4 v[0:3], v[12:13], off offset:32
	ds_read_b128 v[4:7], v255 offset:12320
	ds_read_b128 v[8:11], v255 offset:13552
	s_waitcnt vmcnt(0) lgkmcnt(1)
	v_mul_f64 v[20:21], v[6:7], v[2:3]
	v_mul_f64 v[2:3], v[4:5], v[2:3]
	v_fma_f64 v[4:5], v[4:5], v[0:1], v[20:21]
	v_fma_f64 v[2:3], v[0:1], v[6:7], -v[2:3]
	v_mul_f64 v[0:1], v[4:5], s[0:1]
	v_mul_f64 v[2:3], v[2:3], s[0:1]
	v_mov_b32_e32 v5, s3
	v_add_co_u32_e32 v4, vcc, s2, v14
	v_addc_co_u32_e32 v5, vcc, v15, v5, vcc
	v_add_co_u32_e32 v14, vcc, s2, v4
	global_store_dwordx4 v[4:5], v[0:3], off
	global_load_dwordx4 v[0:3], v[12:13], off offset:1264
	s_waitcnt vmcnt(0) lgkmcnt(0)
	v_mul_f64 v[6:7], v[10:11], v[2:3]
	v_mul_f64 v[2:3], v[8:9], v[2:3]
	v_fma_f64 v[6:7], v[8:9], v[0:1], v[6:7]
	v_fma_f64 v[2:3], v[0:1], v[10:11], -v[2:3]
	v_mul_f64 v[0:1], v[6:7], s[0:1]
	v_mul_f64 v[2:3], v[2:3], s[0:1]
	v_mov_b32_e32 v6, s3
	v_addc_co_u32_e32 v15, vcc, v5, v6, vcc
	global_store_dwordx4 v[14:15], v[0:3], off
	global_load_dwordx4 v[0:3], v[12:13], off offset:2496
	ds_read_b128 v[4:7], v255 offset:14784
	ds_read_b128 v[8:11], v255 offset:16016
	s_waitcnt vmcnt(0) lgkmcnt(1)
	v_mul_f64 v[20:21], v[6:7], v[2:3]
	v_mul_f64 v[2:3], v[4:5], v[2:3]
	v_fma_f64 v[4:5], v[4:5], v[0:1], v[20:21]
	v_fma_f64 v[2:3], v[0:1], v[6:7], -v[2:3]
	v_mul_f64 v[0:1], v[4:5], s[0:1]
	v_mul_f64 v[2:3], v[2:3], s[0:1]
	v_mov_b32_e32 v5, s3
	v_add_co_u32_e32 v4, vcc, s2, v14
	v_addc_co_u32_e32 v5, vcc, v15, v5, vcc
	global_store_dwordx4 v[4:5], v[0:3], off
	global_load_dwordx4 v[0:3], v[12:13], off offset:3728
	v_add_co_u32_e32 v12, vcc, s4, v22
	v_addc_co_u32_e32 v13, vcc, 0, v23, vcc
	v_add_co_u32_e32 v14, vcc, s2, v4
	s_waitcnt vmcnt(0) lgkmcnt(0)
	v_mul_f64 v[6:7], v[10:11], v[2:3]
	v_mul_f64 v[2:3], v[8:9], v[2:3]
	v_fma_f64 v[6:7], v[8:9], v[0:1], v[6:7]
	v_fma_f64 v[2:3], v[0:1], v[10:11], -v[2:3]
	v_mov_b32_e32 v8, s3
	v_addc_co_u32_e32 v15, vcc, v5, v8, vcc
	v_mul_f64 v[0:1], v[6:7], s[0:1]
	v_mul_f64 v[2:3], v[2:3], s[0:1]
	global_store_dwordx4 v[14:15], v[0:3], off
	global_load_dwordx4 v[0:3], v[12:13], off offset:864
	ds_read_b128 v[4:7], v255 offset:17248
	ds_read_b128 v[8:11], v255 offset:18480
	s_waitcnt vmcnt(0) lgkmcnt(1)
	v_mul_f64 v[20:21], v[6:7], v[2:3]
	v_mul_f64 v[2:3], v[4:5], v[2:3]
	v_fma_f64 v[4:5], v[4:5], v[0:1], v[20:21]
	v_fma_f64 v[2:3], v[0:1], v[6:7], -v[2:3]
	v_mul_f64 v[0:1], v[4:5], s[0:1]
	v_mul_f64 v[2:3], v[2:3], s[0:1]
	v_mov_b32_e32 v5, s3
	v_add_co_u32_e32 v4, vcc, s2, v14
	v_addc_co_u32_e32 v5, vcc, v15, v5, vcc
	global_store_dwordx4 v[4:5], v[0:3], off
	global_load_dwordx4 v[0:3], v[12:13], off offset:2096
	v_add_co_u32_e32 v4, vcc, s2, v4
	s_waitcnt vmcnt(0) lgkmcnt(0)
	v_mul_f64 v[6:7], v[10:11], v[2:3]
	v_mul_f64 v[2:3], v[8:9], v[2:3]
	v_fma_f64 v[6:7], v[8:9], v[0:1], v[6:7]
	v_fma_f64 v[2:3], v[0:1], v[10:11], -v[2:3]
	v_mul_f64 v[0:1], v[6:7], s[0:1]
	v_mul_f64 v[2:3], v[2:3], s[0:1]
	v_mov_b32_e32 v6, s3
	v_addc_co_u32_e32 v5, vcc, v5, v6, vcc
	global_store_dwordx4 v[4:5], v[0:3], off
	global_load_dwordx4 v[0:3], v[12:13], off offset:3328
	v_add_co_u32_e32 v4, vcc, s2, v4
	s_waitcnt vmcnt(0)
	v_mul_f64 v[6:7], v[18:19], v[2:3]
	v_mul_f64 v[2:3], v[16:17], v[2:3]
	v_fma_f64 v[6:7], v[16:17], v[0:1], v[6:7]
	v_fma_f64 v[2:3], v[0:1], v[18:19], -v[2:3]
	v_mul_f64 v[0:1], v[6:7], s[0:1]
	v_mul_f64 v[2:3], v[2:3], s[0:1]
	v_mov_b32_e32 v6, s3
	v_addc_co_u32_e32 v5, vcc, v5, v6, vcc
	global_store_dwordx4 v[4:5], v[0:3], off
.LBB0_23:
	s_endpgm
	.section	.rodata,"a",@progbits
	.p2align	6, 0x0
	.amdhsa_kernel bluestein_single_fwd_len1309_dim1_dp_op_CI_CI
		.amdhsa_group_segment_fixed_size 20944
		.amdhsa_private_segment_fixed_size 532
		.amdhsa_kernarg_size 104
		.amdhsa_user_sgpr_count 6
		.amdhsa_user_sgpr_private_segment_buffer 1
		.amdhsa_user_sgpr_dispatch_ptr 0
		.amdhsa_user_sgpr_queue_ptr 0
		.amdhsa_user_sgpr_kernarg_segment_ptr 1
		.amdhsa_user_sgpr_dispatch_id 0
		.amdhsa_user_sgpr_flat_scratch_init 0
		.amdhsa_user_sgpr_private_segment_size 0
		.amdhsa_uses_dynamic_stack 0
		.amdhsa_system_sgpr_private_segment_wavefront_offset 1
		.amdhsa_system_sgpr_workgroup_id_x 1
		.amdhsa_system_sgpr_workgroup_id_y 0
		.amdhsa_system_sgpr_workgroup_id_z 0
		.amdhsa_system_sgpr_workgroup_info 0
		.amdhsa_system_vgpr_workitem_id 0
		.amdhsa_next_free_vgpr 256
		.amdhsa_next_free_sgpr 68
		.amdhsa_reserve_vcc 1
		.amdhsa_reserve_flat_scratch 0
		.amdhsa_float_round_mode_32 0
		.amdhsa_float_round_mode_16_64 0
		.amdhsa_float_denorm_mode_32 3
		.amdhsa_float_denorm_mode_16_64 3
		.amdhsa_dx10_clamp 1
		.amdhsa_ieee_mode 1
		.amdhsa_fp16_overflow 0
		.amdhsa_exception_fp_ieee_invalid_op 0
		.amdhsa_exception_fp_denorm_src 0
		.amdhsa_exception_fp_ieee_div_zero 0
		.amdhsa_exception_fp_ieee_overflow 0
		.amdhsa_exception_fp_ieee_underflow 0
		.amdhsa_exception_fp_ieee_inexact 0
		.amdhsa_exception_int_div_zero 0
	.end_amdhsa_kernel
	.text
.Lfunc_end0:
	.size	bluestein_single_fwd_len1309_dim1_dp_op_CI_CI, .Lfunc_end0-bluestein_single_fwd_len1309_dim1_dp_op_CI_CI
                                        ; -- End function
	.section	.AMDGPU.csdata,"",@progbits
; Kernel info:
; codeLenInByte = 33492
; NumSgprs: 72
; NumVgprs: 256
; ScratchSize: 532
; MemoryBound: 0
; FloatMode: 240
; IeeeMode: 1
; LDSByteSize: 20944 bytes/workgroup (compile time only)
; SGPRBlocks: 8
; VGPRBlocks: 63
; NumSGPRsForWavesPerEU: 72
; NumVGPRsForWavesPerEU: 256
; Occupancy: 1
; WaveLimiterHint : 1
; COMPUTE_PGM_RSRC2:SCRATCH_EN: 1
; COMPUTE_PGM_RSRC2:USER_SGPR: 6
; COMPUTE_PGM_RSRC2:TRAP_HANDLER: 0
; COMPUTE_PGM_RSRC2:TGID_X_EN: 1
; COMPUTE_PGM_RSRC2:TGID_Y_EN: 0
; COMPUTE_PGM_RSRC2:TGID_Z_EN: 0
; COMPUTE_PGM_RSRC2:TIDIG_COMP_CNT: 0
	.type	__hip_cuid_f30bc76a21b1dc4f,@object ; @__hip_cuid_f30bc76a21b1dc4f
	.section	.bss,"aw",@nobits
	.globl	__hip_cuid_f30bc76a21b1dc4f
__hip_cuid_f30bc76a21b1dc4f:
	.byte	0                               ; 0x0
	.size	__hip_cuid_f30bc76a21b1dc4f, 1

	.ident	"AMD clang version 19.0.0git (https://github.com/RadeonOpenCompute/llvm-project roc-6.4.0 25133 c7fe45cf4b819c5991fe208aaa96edf142730f1d)"
	.section	".note.GNU-stack","",@progbits
	.addrsig
	.addrsig_sym __hip_cuid_f30bc76a21b1dc4f
	.amdgpu_metadata
---
amdhsa.kernels:
  - .args:
      - .actual_access:  read_only
        .address_space:  global
        .offset:         0
        .size:           8
        .value_kind:     global_buffer
      - .actual_access:  read_only
        .address_space:  global
        .offset:         8
        .size:           8
        .value_kind:     global_buffer
      - .actual_access:  read_only
        .address_space:  global
        .offset:         16
        .size:           8
        .value_kind:     global_buffer
      - .actual_access:  read_only
        .address_space:  global
        .offset:         24
        .size:           8
        .value_kind:     global_buffer
      - .actual_access:  read_only
        .address_space:  global
        .offset:         32
        .size:           8
        .value_kind:     global_buffer
      - .offset:         40
        .size:           8
        .value_kind:     by_value
      - .address_space:  global
        .offset:         48
        .size:           8
        .value_kind:     global_buffer
      - .address_space:  global
        .offset:         56
        .size:           8
        .value_kind:     global_buffer
      - .address_space:  global
        .offset:         64
        .size:           8
        .value_kind:     global_buffer
      - .address_space:  global
        .offset:         72
        .size:           8
        .value_kind:     global_buffer
      - .offset:         80
        .size:           4
        .value_kind:     by_value
      - .address_space:  global
        .offset:         88
        .size:           8
        .value_kind:     global_buffer
      - .address_space:  global
        .offset:         96
        .size:           8
        .value_kind:     global_buffer
    .group_segment_fixed_size: 20944
    .kernarg_segment_align: 8
    .kernarg_segment_size: 104
    .language:       OpenCL C
    .language_version:
      - 2
      - 0
    .max_flat_workgroup_size: 119
    .name:           bluestein_single_fwd_len1309_dim1_dp_op_CI_CI
    .private_segment_fixed_size: 532
    .sgpr_count:     72
    .sgpr_spill_count: 0
    .symbol:         bluestein_single_fwd_len1309_dim1_dp_op_CI_CI.kd
    .uniform_work_group_size: 1
    .uses_dynamic_stack: false
    .vgpr_count:     256
    .vgpr_spill_count: 224
    .wavefront_size: 64
amdhsa.target:   amdgcn-amd-amdhsa--gfx906
amdhsa.version:
  - 1
  - 2
...

	.end_amdgpu_metadata
